;; amdgpu-corpus repo=ROCm/rocFFT kind=compiled arch=gfx1100 opt=O3
	.text
	.amdgcn_target "amdgcn-amd-amdhsa--gfx1100"
	.amdhsa_code_object_version 6
	.protected	bluestein_single_fwd_len3240_dim1_dp_op_CI_CI ; -- Begin function bluestein_single_fwd_len3240_dim1_dp_op_CI_CI
	.globl	bluestein_single_fwd_len3240_dim1_dp_op_CI_CI
	.p2align	8
	.type	bluestein_single_fwd_len3240_dim1_dp_op_CI_CI,@function
bluestein_single_fwd_len3240_dim1_dp_op_CI_CI: ; @bluestein_single_fwd_len3240_dim1_dp_op_CI_CI
; %bb.0:
	s_load_b128 s[16:19], s[0:1], 0x28
	v_mul_u32_u24_e32 v1, 0x25f, v0
	s_mov_b32 s2, exec_lo
	v_mov_b32_e32 v3, 0
	s_delay_alu instid0(VALU_DEP_2) | instskip(NEXT) | instid1(VALU_DEP_1)
	v_lshrrev_b32_e32 v1, 16, v1
	v_add_nc_u32_e32 v2, s15, v1
	s_waitcnt lgkmcnt(0)
	s_delay_alu instid0(VALU_DEP_1)
	v_cmpx_gt_u64_e64 s[16:17], v[2:3]
	s_cbranch_execz .LBB0_2
; %bb.1:
	s_clause 0x1
	s_load_b128 s[4:7], s[0:1], 0x18
	s_load_b128 s[8:11], s[0:1], 0x0
	v_mul_lo_u16 v1, 0x6c, v1
	s_mov_b32 s21, 0xbfee6f0e
	s_mov_b32 s17, 0xbfe2cf23
	;; [unrolled: 1-line block ×4, first 2 shown]
	v_sub_nc_u16 v152, v0, v1
	s_mov_b32 s23, 0x3fe9e377
	s_mov_b32 s27, 0xbfe9e377
	v_mov_b32_e32 v6, v2
	s_mov_b32 s26, s22
	v_and_b32_e32 v207, 0xffff, v152
	s_load_b64 s[0:1], s[0:1], 0x38
	scratch_store_b64 off, v[6:7], off      ; 8-byte Folded Spill
	s_waitcnt lgkmcnt(0)
	s_load_b128 s[12:15], s[4:5], 0x0
	s_waitcnt lgkmcnt(0)
	v_mad_u64_u32 v[0:1], null, s14, v2, 0
	v_mad_u64_u32 v[2:3], null, s12, v207, 0
	s_mul_hi_u32 s4, s12, 0x4380
	s_mul_i32 s3, s12, 0x4380
	s_mul_i32 s5, s12, 0xffff7fc0
	s_delay_alu instid0(VALU_DEP_1) | instskip(SKIP_4) | instid1(VALU_DEP_2)
	v_mad_u64_u32 v[4:5], null, s15, v6, v[1:2]
	v_lshlrev_b32_e32 v8, 4, v207
	s_mov_b32 s14, 0x372fe950
	s_mov_b32 s15, 0x3fd3c6ef
	;; [unrolled: 1-line block ×3, first 2 shown]
	v_mov_b32_e32 v1, v4
	global_load_b128 v[54:57], v8, s[8:9]
	v_mad_u64_u32 v[5:6], null, s13, v207, v[3:4]
	v_add_co_u32 v128, s2, s8, v8
	s_delay_alu instid0(VALU_DEP_1) | instskip(SKIP_1) | instid1(VALU_DEP_3)
	v_add_co_ci_u32_e64 v186, null, s9, 0, s2
	v_lshlrev_b64 v[0:1], 4, v[0:1]
	v_add_co_u32 v9, vcc_lo, 0x4000, v128
	s_delay_alu instid0(VALU_DEP_3) | instskip(SKIP_1) | instid1(VALU_DEP_3)
	v_add_co_ci_u32_e32 v10, vcc_lo, 0, v186, vcc_lo
	s_mul_i32 s2, s13, 0x4380
	v_add_co_u32 v0, vcc_lo, s18, v0
	s_delay_alu instid0(VALU_DEP_4)
	v_add_co_ci_u32_e32 v1, vcc_lo, s19, v1, vcc_lo
	s_add_i32 s4, s4, s2
	s_mul_i32 s2, s13, 0xffff7fc0
	s_mul_hi_u32 s13, s12, 0xffff7fc0
	s_mov_b32 s18, 0x134454ff
	s_sub_i32 s12, s13, s12
	s_mov_b32 s19, 0x3fee6f0e
	s_add_i32 s12, s12, s2
	s_mov_b32 s20, s18
	s_waitcnt vmcnt(0)
	v_mov_b32_e32 v59, v57
	v_dual_mov_b32 v3, v5 :: v_dual_mov_b32 v58, v56
	s_delay_alu instid0(VALU_DEP_1) | instskip(NEXT) | instid1(VALU_DEP_1)
	v_lshlrev_b64 v[2:3], 4, v[2:3]
	v_add_co_u32 v0, vcc_lo, v0, v2
	s_delay_alu instid0(VALU_DEP_2) | instskip(NEXT) | instid1(VALU_DEP_2)
	v_add_co_ci_u32_e32 v1, vcc_lo, v1, v3, vcc_lo
	v_add_co_u32 v11, vcc_lo, v0, s3
	s_delay_alu instid0(VALU_DEP_2)
	v_add_co_ci_u32_e32 v12, vcc_lo, s4, v1, vcc_lo
	global_load_b128 v[0:3], v[0:1], off
	global_load_b128 v[64:67], v[9:10], off offset:896
	global_load_b128 v[4:7], v[11:12], off
	v_add_co_u32 v40, vcc_lo, 0x8000, v128
	v_add_co_ci_u32_e32 v41, vcc_lo, 0, v186, vcc_lo
	v_add_co_u32 v11, vcc_lo, v11, s3
	v_add_co_ci_u32_e32 v12, vcc_lo, s4, v12, vcc_lo
	global_load_b128 v[60:63], v[40:41], off offset:1792
	v_add_co_u32 v16, vcc_lo, v11, s5
	v_add_co_ci_u32_e32 v17, vcc_lo, s12, v12, vcc_lo
	global_load_b128 v[12:15], v[11:12], off
	global_load_b128 v[72:75], v8, s[8:9] offset:1728
	global_load_b128 v[50:53], v[16:17], off
	v_add_co_u32 v16, vcc_lo, v16, s3
	v_add_co_ci_u32_e32 v17, vcc_lo, s4, v17, vcc_lo
	global_load_b128 v[68:71], v[9:10], off offset:2624
	v_add_co_u32 v9, vcc_lo, v16, s3
	v_add_co_ci_u32_e32 v10, vcc_lo, s4, v17, vcc_lo
	global_load_b128 v[16:19], v[16:17], off
	global_load_b128 v[76:79], v[40:41], off offset:3520
	global_load_b128 v[20:23], v[9:10], off
	global_load_b128 v[80:83], v8, s[8:9] offset:3456
	v_add_co_u32 v9, s2, v9, s5
	v_add_co_u32 v42, vcc_lo, 0x5000, v128
	v_add_co_ci_u32_e64 v10, s2, s12, v10, s2
	v_add_co_ci_u32_e32 v43, vcc_lo, 0, v186, vcc_lo
	s_delay_alu instid0(VALU_DEP_4) | instskip(NEXT) | instid1(VALU_DEP_3)
	v_add_co_u32 v32, vcc_lo, v9, s3
	v_add_co_ci_u32_e32 v33, vcc_lo, s4, v10, vcc_lo
	global_load_b128 v[24:27], v[9:10], off
	global_load_b128 v[84:87], v[42:43], off offset:256
	global_load_b128 v[28:31], v[32:33], off
	v_add_co_u32 v46, vcc_lo, 0x9000, v128
	v_add_co_u32 v44, s2, 0x1000, v128
	v_add_co_ci_u32_e32 v47, vcc_lo, 0, v186, vcc_lo
	v_add_co_ci_u32_e64 v45, vcc_lo, 0, v186, s2
	v_add_co_u32 v9, vcc_lo, v32, s3
	v_add_co_ci_u32_e32 v10, vcc_lo, s4, v33, vcc_lo
	global_load_b128 v[88:91], v[46:47], off offset:1152
	v_add_co_u32 v48, vcc_lo, v9, s5
	v_add_co_ci_u32_e32 v49, vcc_lo, s12, v10, vcc_lo
	global_load_b128 v[32:35], v[9:10], off
	global_load_b128 v[92:95], v[44:45], off offset:1088
	global_load_b128 v[36:39], v[48:49], off
	v_add_co_u32 v48, vcc_lo, v48, s3
	v_add_co_ci_u32_e32 v49, vcc_lo, s4, v49, vcc_lo
	s_mov_b32 s9, 0xbfebb67a
	s_waitcnt vmcnt(17)
	v_dual_mov_b32 v99, v67 :: v_dual_mov_b32 v98, v66
	v_dual_mov_b32 v57, v55 :: v_dual_mov_b32 v96, v64
	;; [unrolled: 1-line block ×4, first 2 shown]
	v_mul_f64 v[54:55], v[0:1], v[58:59]
	s_delay_alu instid0(VALU_DEP_3)
	v_dual_mov_b32 v101, v57 :: v_dual_mov_b32 v100, v56
	s_waitcnt vmcnt(16)
	v_mul_f64 v[56:57], v[6:7], v[66:67]
	v_mul_f64 v[9:10], v[2:3], v[58:59]
	;; [unrolled: 1-line block ×3, first 2 shown]
	s_waitcnt vmcnt(15)
	v_dual_mov_b32 v67, v63 :: v_dual_mov_b32 v64, v60
	v_dual_mov_b32 v66, v62 :: v_dual_mov_b32 v65, v61
	s_waitcnt vmcnt(12)
	v_mul_f64 v[62:63], v[52:53], v[74:75]
	scratch_store_b128 off, v[72:75], off offset:280 ; 16-byte Folded Spill
	v_mul_f64 v[60:61], v[14:15], v[66:67]
	s_waitcnt vmcnt(11)
	scratch_store_b128 off, v[68:71], off offset:216 ; 16-byte Folded Spill
	s_waitcnt vmcnt(9)
	scratch_store_b128 off, v[76:79], off offset:232 ; 16-byte Folded Spill
	;; [unrolled: 2-line block ×4, first 2 shown]
	v_fma_f64 v[2:3], v[2:3], v[100:101], -v[54:55]
	v_mul_f64 v[54:55], v[12:13], v[66:67]
	v_fma_f64 v[4:5], v[4:5], v[96:97], v[56:57]
	v_mul_f64 v[56:57], v[50:51], v[74:75]
	v_fma_f64 v[0:1], v[0:1], v[100:101], v[9:10]
	v_fma_f64 v[6:7], v[6:7], v[96:97], -v[58:59]
	v_mul_f64 v[58:59], v[18:19], v[70:71]
	s_waitcnt vmcnt(3)
	scratch_store_b128 off, v[88:91], off offset:312 ; 16-byte Folded Spill
	v_fma_f64 v[50:51], v[50:51], v[72:73], v[62:63]
	v_mul_f64 v[62:63], v[26:27], v[82:83]
	v_fma_f64 v[10:11], v[12:13], v[64:65], v[60:61]
	v_mul_f64 v[60:61], v[22:23], v[78:79]
	v_fma_f64 v[12:13], v[14:15], v[64:65], -v[54:55]
	v_mul_f64 v[54:55], v[16:17], v[70:71]
	v_fma_f64 v[52:53], v[52:53], v[72:73], -v[56:57]
	v_mul_f64 v[56:57], v[20:21], v[78:79]
	v_fma_f64 v[14:15], v[16:17], v[68:69], v[58:59]
	v_mul_f64 v[58:59], v[30:31], v[86:87]
	v_fma_f64 v[16:17], v[18:19], v[68:69], -v[54:55]
	v_mul_f64 v[54:55], v[24:25], v[82:83]
	v_fma_f64 v[18:19], v[20:21], v[76:77], v[60:61]
	v_fma_f64 v[20:21], v[22:23], v[76:77], -v[56:57]
	v_mul_f64 v[56:57], v[28:29], v[86:87]
	s_waitcnt vmcnt(2)
	v_mul_f64 v[60:61], v[34:35], v[90:91]
	v_fma_f64 v[22:23], v[24:25], v[80:81], v[62:63]
	s_waitcnt vmcnt(0)
	v_mul_f64 v[62:63], v[38:39], v[94:95]
	v_fma_f64 v[24:25], v[26:27], v[80:81], -v[54:55]
	v_mul_f64 v[54:55], v[32:33], v[90:91]
	v_fma_f64 v[26:27], v[28:29], v[84:85], v[58:59]
	v_fma_f64 v[28:29], v[30:31], v[84:85], -v[56:57]
	v_mul_f64 v[56:57], v[36:37], v[94:95]
	v_fma_f64 v[30:31], v[32:33], v[88:89], v[60:61]
	global_load_b128 v[58:61], v[42:43], off offset:1984
	v_fma_f64 v[32:33], v[34:35], v[88:89], -v[54:55]
	v_fma_f64 v[34:35], v[36:37], v[92:93], v[62:63]
	v_fma_f64 v[36:37], v[38:39], v[92:93], -v[56:57]
	global_load_b128 v[54:57], v[48:49], off
	s_waitcnt vmcnt(1)
	v_mov_b32_e32 v63, v61
	v_dual_mov_b32 v62, v60 :: v_dual_mov_b32 v61, v59
	v_mov_b32_e32 v60, v58
	s_clause 0x1
	scratch_store_b128 off, v[64:67], off offset:344
	scratch_store_b128 off, v[60:63], off offset:376
	s_waitcnt vmcnt(0)
	v_mul_f64 v[38:39], v[56:57], v[62:63]
	v_mul_f64 v[58:59], v[54:55], v[62:63]
	global_load_b128 v[62:65], v[46:47], off offset:2880
	scratch_store_b128 off, v[92:95], off offset:360 ; 16-byte Folded Spill
	v_fma_f64 v[54:55], v[54:55], v[60:61], v[38:39]
	v_add_co_u32 v38, vcc_lo, v48, s3
	v_add_co_ci_u32_e32 v39, vcc_lo, s4, v49, vcc_lo
	v_fma_f64 v[56:57], v[56:57], v[60:61], -v[58:59]
	global_load_b128 v[46:49], v[38:39], off
	v_add_co_u32 v38, vcc_lo, v38, s5
	v_add_co_ci_u32_e32 v39, vcc_lo, s12, v39, vcc_lo
	s_waitcnt vmcnt(1)
	scratch_store_b128 off, v[62:65], off offset:328 ; 16-byte Folded Spill
	s_waitcnt vmcnt(0)
	v_mul_f64 v[58:59], v[48:49], v[64:65]
	v_mul_f64 v[60:61], v[46:47], v[64:65]
	global_load_b128 v[64:67], v[44:45], off offset:2816
	v_fma_f64 v[46:47], v[46:47], v[62:63], v[58:59]
	v_fma_f64 v[48:49], v[48:49], v[62:63], -v[60:61]
	global_load_b128 v[58:61], v[38:39], off
	v_add_co_u32 v38, vcc_lo, v38, s3
	v_add_co_ci_u32_e32 v39, vcc_lo, s4, v39, vcc_lo
	s_waitcnt vmcnt(1)
	scratch_store_b128 off, v[64:67], off offset:408 ; 16-byte Folded Spill
	s_waitcnt vmcnt(0)
	v_mul_f64 v[44:45], v[60:61], v[66:67]
	v_mul_f64 v[62:63], v[58:59], v[66:67]
	global_load_b128 v[66:69], v[42:43], off offset:3712
	v_fma_f64 v[58:59], v[58:59], v[64:65], v[44:45]
	global_load_b128 v[42:45], v[38:39], off
	v_fma_f64 v[60:61], v[60:61], v[64:65], -v[62:63]
	v_add_co_u32 v38, vcc_lo, v38, s3
	v_add_co_ci_u32_e32 v39, vcc_lo, s4, v39, vcc_lo
	v_add_co_u32 v86, vcc_lo, 0xa000, v128
	v_add_co_ci_u32_e32 v87, vcc_lo, 0, v186, vcc_lo
	s_clause 0x1
	global_load_b128 v[70:73], v[86:87], off offset:512
	global_load_b128 v[92:95], v[86:87], off offset:2240
	s_waitcnt vmcnt(3)
	scratch_store_b128 off, v[66:69], off offset:424 ; 16-byte Folded Spill
	s_waitcnt vmcnt(2)
	v_mul_f64 v[62:63], v[44:45], v[68:69]
	v_mul_f64 v[64:65], v[42:43], v[68:69]
	s_waitcnt vmcnt(1)
	scratch_store_b128 off, v[70:73], off offset:440 ; 16-byte Folded Spill
	s_waitcnt vmcnt(0)
	scratch_store_b128 off, v[92:95], off offset:264 ; 16-byte Folded Spill
	v_fma_f64 v[42:43], v[42:43], v[66:67], v[62:63]
	v_fma_f64 v[44:45], v[44:45], v[66:67], -v[64:65]
	global_load_b128 v[62:65], v[38:39], off
	v_add_co_u32 v38, vcc_lo, v38, s5
	v_add_co_ci_u32_e32 v39, vcc_lo, s12, v39, vcc_lo
	v_add_co_u32 v90, vcc_lo, 0x2000, v128
	v_add_co_ci_u32_e32 v91, vcc_lo, 0, v186, vcc_lo
	global_load_b128 v[74:77], v[90:91], off offset:448
	s_waitcnt vmcnt(1)
	v_mul_f64 v[66:67], v[64:65], v[72:73]
	v_mul_f64 v[68:69], v[62:63], v[72:73]
	s_waitcnt vmcnt(0)
	scratch_store_b128 off, v[74:77], off offset:456 ; 16-byte Folded Spill
	v_fma_f64 v[62:63], v[62:63], v[70:71], v[66:67]
	v_fma_f64 v[64:65], v[64:65], v[70:71], -v[68:69]
	global_load_b128 v[66:69], v[38:39], off
	v_add_co_u32 v38, vcc_lo, v38, s3
	v_add_co_ci_u32_e32 v39, vcc_lo, s4, v39, vcc_lo
	v_add_co_u32 v82, vcc_lo, 0x6000, v128
	v_add_co_ci_u32_e32 v83, vcc_lo, 0, v186, vcc_lo
	global_load_b128 v[78:81], v[82:83], off offset:1344
	s_waitcnt vmcnt(1)
	v_mul_f64 v[70:71], v[68:69], v[76:77]
	v_mul_f64 v[72:73], v[66:67], v[76:77]
	s_waitcnt vmcnt(0)
	scratch_store_b128 off, v[78:81], off offset:200 ; 16-byte Folded Spill
	v_fma_f64 v[66:67], v[66:67], v[74:75], v[70:71]
	v_fma_f64 v[68:69], v[68:69], v[74:75], -v[72:73]
	global_load_b128 v[70:73], v[38:39], off
	v_add_co_u32 v38, vcc_lo, v38, s3
	v_add_co_ci_u32_e32 v39, vcc_lo, s4, v39, vcc_lo
	s_waitcnt vmcnt(0)
	v_mul_f64 v[74:75], v[72:73], v[80:81]
	v_mul_f64 v[76:77], v[70:71], v[80:81]
	s_delay_alu instid0(VALU_DEP_2) | instskip(NEXT) | instid1(VALU_DEP_2)
	v_fma_f64 v[70:71], v[70:71], v[78:79], v[74:75]
	v_fma_f64 v[72:73], v[72:73], v[78:79], -v[76:77]
	global_load_b128 v[74:77], v[38:39], off
	v_add_co_u32 v38, vcc_lo, v38, s5
	v_add_co_ci_u32_e32 v39, vcc_lo, s12, v39, vcc_lo
	s_waitcnt vmcnt(0)
	v_mul_f64 v[78:79], v[76:77], v[94:95]
	v_mul_f64 v[80:81], v[74:75], v[94:95]
	s_delay_alu instid0(VALU_DEP_2) | instskip(NEXT) | instid1(VALU_DEP_2)
	v_fma_f64 v[74:75], v[74:75], v[92:93], v[78:79]
	v_fma_f64 v[76:77], v[76:77], v[92:93], -v[80:81]
	global_load_b128 v[92:95], v[90:91], off offset:2176
	global_load_b128 v[78:81], v[38:39], off
	v_add_co_u32 v38, vcc_lo, v38, s3
	v_add_co_ci_u32_e32 v39, vcc_lo, s4, v39, vcc_lo
	scratch_store_b128 off, v[96:99], off offset:392 ; 16-byte Folded Spill
	s_waitcnt vmcnt(1)
	scratch_store_b128 off, v[92:95], off offset:184 ; 16-byte Folded Spill
	s_waitcnt vmcnt(0)
	v_mul_f64 v[84:85], v[80:81], v[94:95]
	v_mul_f64 v[88:89], v[78:79], v[94:95]
	global_load_b128 v[94:97], v[82:83], off offset:3072
	v_fma_f64 v[78:79], v[78:79], v[92:93], v[84:85]
	global_load_b128 v[82:85], v[38:39], off
	v_fma_f64 v[80:81], v[80:81], v[92:93], -v[88:89]
	v_add_co_u32 v38, vcc_lo, v38, s3
	v_add_co_ci_u32_e32 v39, vcc_lo, s4, v39, vcc_lo
	s_waitcnt vmcnt(1)
	scratch_store_b128 off, v[94:97], off offset:168 ; 16-byte Folded Spill
	s_waitcnt vmcnt(0)
	v_mul_f64 v[88:89], v[84:85], v[96:97]
	v_mul_f64 v[92:93], v[82:83], v[96:97]
	global_load_b128 v[96:99], v[86:87], off offset:3968
	scratch_store_b128 off, v[100:103], off offset:472 ; 16-byte Folded Spill
	v_fma_f64 v[82:83], v[82:83], v[94:95], v[88:89]
	global_load_b128 v[86:89], v[38:39], off
	v_fma_f64 v[84:85], v[84:85], v[94:95], -v[92:93]
	v_add_co_u32 v38, vcc_lo, v38, s5
	v_add_co_ci_u32_e32 v39, vcc_lo, s12, v39, vcc_lo
	s_waitcnt vmcnt(1)
	scratch_store_b128 off, v[96:99], off offset:40 ; 16-byte Folded Spill
	s_waitcnt vmcnt(0)
	v_mul_f64 v[92:93], v[88:89], v[98:99]
	v_mul_f64 v[94:95], v[86:87], v[98:99]
	global_load_b128 v[98:101], v[90:91], off offset:3904
	v_fma_f64 v[86:87], v[86:87], v[96:97], v[92:93]
	global_load_b128 v[90:93], v[38:39], off
	v_fma_f64 v[88:89], v[88:89], v[96:97], -v[94:95]
	v_add_co_u32 v38, vcc_lo, v38, s3
	v_add_co_ci_u32_e32 v39, vcc_lo, s4, v39, vcc_lo
	v_add_co_u32 v106, vcc_lo, 0x7000, v128
	v_add_co_ci_u32_e32 v107, vcc_lo, 0, v186, vcc_lo
	global_load_b128 v[102:105], v[106:107], off offset:704
	s_waitcnt vmcnt(2)
	scratch_store_b128 off, v[98:101], off offset:88 ; 16-byte Folded Spill
	s_waitcnt vmcnt(1)
	v_mul_f64 v[94:95], v[92:93], v[100:101]
	v_mul_f64 v[96:97], v[90:91], v[100:101]
	s_waitcnt vmcnt(0)
	scratch_store_b128 off, v[102:105], off offset:56 ; 16-byte Folded Spill
	v_fma_f64 v[90:91], v[90:91], v[98:99], v[94:95]
	v_fma_f64 v[92:93], v[92:93], v[98:99], -v[96:97]
	global_load_b128 v[94:97], v[38:39], off
	v_add_co_u32 v38, vcc_lo, v38, s3
	v_add_co_ci_u32_e32 v39, vcc_lo, s4, v39, vcc_lo
	v_add_co_u32 v110, vcc_lo, 0xb000, v128
	v_add_co_ci_u32_e32 v111, vcc_lo, 0, v186, vcc_lo
	global_load_b128 v[112:115], v[110:111], off offset:1600
	s_waitcnt vmcnt(1)
	v_mul_f64 v[98:99], v[96:97], v[104:105]
	v_mul_f64 v[100:101], v[94:95], v[104:105]
	s_waitcnt vmcnt(0)
	scratch_store_b128 off, v[112:115], off offset:104 ; 16-byte Folded Spill
	v_fma_f64 v[94:95], v[94:95], v[102:103], v[98:99]
	v_fma_f64 v[96:97], v[96:97], v[102:103], -v[100:101]
	global_load_b128 v[98:101], v[38:39], off
	v_add_co_u32 v38, vcc_lo, v38, s5
	v_add_co_ci_u32_e32 v39, vcc_lo, s12, v39, vcc_lo
	s_waitcnt vmcnt(0)
	v_mul_f64 v[102:103], v[100:101], v[114:115]
	v_mul_f64 v[104:105], v[98:99], v[114:115]
	v_add_co_u32 v114, vcc_lo, 0x3000, v128
	v_add_co_ci_u32_e32 v115, vcc_lo, 0, v186, vcc_lo
	global_load_b128 v[116:119], v[114:115], off offset:1536
	v_fma_f64 v[98:99], v[98:99], v[112:113], v[102:103]
	v_fma_f64 v[100:101], v[100:101], v[112:113], -v[104:105]
	global_load_b128 v[102:105], v[38:39], off
	v_add_co_u32 v38, vcc_lo, v38, s3
	v_add_co_ci_u32_e32 v39, vcc_lo, s4, v39, vcc_lo
	s_waitcnt vmcnt(1)
	scratch_store_b128 off, v[116:119], off offset:8 ; 16-byte Folded Spill
	s_waitcnt vmcnt(0)
	v_mul_f64 v[108:109], v[104:105], v[118:119]
	v_mul_f64 v[112:113], v[102:103], v[118:119]
	global_load_b128 v[118:121], v[106:107], off offset:2432
	v_fma_f64 v[102:103], v[102:103], v[116:117], v[108:109]
	global_load_b128 v[106:109], v[38:39], off
	v_fma_f64 v[104:105], v[104:105], v[116:117], -v[112:113]
	v_add_co_u32 v38, vcc_lo, v38, s3
	v_add_co_ci_u32_e32 v39, vcc_lo, s4, v39, vcc_lo
	s_waitcnt vmcnt(1)
	scratch_store_b128 off, v[118:121], off offset:24 ; 16-byte Folded Spill
	s_waitcnt vmcnt(0)
	v_mul_f64 v[112:113], v[108:109], v[120:121]
	v_mul_f64 v[116:117], v[106:107], v[120:121]
	global_load_b128 v[120:123], v[110:111], off offset:3328
	v_fma_f64 v[106:107], v[106:107], v[118:119], v[112:113]
	global_load_b128 v[110:113], v[38:39], off
	v_fma_f64 v[108:109], v[108:109], v[118:119], -v[116:117]
	;; [unrolled: 11-line block ×3, first 2 shown]
	s_waitcnt vmcnt(1)
	scratch_store_b128 off, v[122:125], off offset:120 ; 16-byte Folded Spill
	s_waitcnt vmcnt(0)
	v_mul_f64 v[118:119], v[116:117], v[124:125]
	v_mul_f64 v[120:121], v[114:115], v[124:125]
	s_delay_alu instid0(VALU_DEP_2)
	v_fma_f64 v[114:115], v[114:115], v[122:123], v[118:119]
	v_add_co_u32 v118, vcc_lo, v38, s3
	v_add_co_ci_u32_e32 v119, vcc_lo, s4, v39, vcc_lo
	global_load_b128 v[124:127], v[40:41], off offset:64
	global_load_b128 v[38:41], v[118:119], off
	v_fma_f64 v[116:117], v[116:117], v[122:123], -v[120:121]
	v_add_co_u32 v118, vcc_lo, v118, s3
	v_add_co_ci_u32_e32 v119, vcc_lo, s4, v119, vcc_lo
	s_mov_b32 s2, 0xe8584caa
	s_mov_b32 s3, 0x3febb67a
	;; [unrolled: 1-line block ×3, first 2 shown]
	s_waitcnt vmcnt(0)
	v_mul_f64 v[122:123], v[38:39], v[126:127]
	v_mul_f64 v[120:121], v[40:41], v[126:127]
	s_delay_alu instid0(VALU_DEP_2)
	v_fma_f64 v[40:41], v[40:41], v[124:125], -v[122:123]
	v_add_co_u32 v122, vcc_lo, 0xc000, v128
	v_add_co_ci_u32_e32 v123, vcc_lo, 0, v186, vcc_lo
	scratch_store_b128 off, v[124:127], off offset:136 ; 16-byte Folded Spill
	v_fma_f64 v[38:39], v[38:39], v[124:125], v[120:121]
	v_cmp_gt_u16_e64 vcc_lo, 0x5a, v152
	scratch_store_b64 off, v[122:123], off offset:1564 ; 8-byte Folded Spill
	global_load_b128 v[118:121], v[118:119], off
	global_load_b128 v[129:132], v[122:123], off offset:960
	s_waitcnt vmcnt(0)
	v_mul_f64 v[122:123], v[120:121], v[131:132]
	v_mul_f64 v[124:125], v[118:119], v[131:132]
	scratch_store_b128 off, v[129:132], off offset:152 ; 16-byte Folded Spill
	v_fma_f64 v[118:119], v[118:119], v[129:130], v[122:123]
	v_fma_f64 v[120:121], v[120:121], v[129:130], -v[124:125]
	ds_store_b128 v8, v[0:3]
	ds_store_b128 v8, v[4:7] offset:17280
	ds_store_b128 v8, v[10:13] offset:34560
	;; [unrolled: 1-line block ×29, first 2 shown]
	s_load_b128 s[4:7], s[6:7], 0x0
	s_waitcnt lgkmcnt(0)
	s_waitcnt_vscnt null, 0x0
	s_barrier
	buffer_gl0_inv
	ds_load_b128 v[40:43], v8
	ds_load_b128 v[0:3], v8 offset:17280
	ds_load_b128 v[4:7], v8 offset:34560
	s_waitcnt lgkmcnt(1)
	v_add_f64 v[9:10], v[40:41], v[0:1]
	v_add_f64 v[11:12], v[42:43], v[2:3]
	s_waitcnt lgkmcnt(0)
	v_add_f64 v[84:85], v[0:1], v[4:5]
	v_add_f64 v[86:87], v[2:3], -v[6:7]
	v_add_f64 v[88:89], v[2:3], v[6:7]
	v_add_f64 v[90:91], v[0:1], -v[4:5]
	ds_load_b128 v[0:3], v8 offset:19008
	ds_load_b128 v[44:47], v8 offset:1728
	v_add_f64 v[28:29], v[9:10], v[4:5]
	v_add_f64 v[30:31], v[11:12], v[6:7]
	ds_load_b128 v[4:7], v8 offset:36288
	s_waitcnt lgkmcnt(1)
	v_add_f64 v[9:10], v[44:45], v[0:1]
	v_add_f64 v[11:12], v[46:47], v[2:3]
	v_fma_f64 v[40:41], v[84:85], -0.5, v[40:41]
	v_fma_f64 v[42:43], v[88:89], -0.5, v[42:43]
	s_waitcnt lgkmcnt(0)
	v_add_f64 v[92:93], v[0:1], v[4:5]
	v_add_f64 v[94:95], v[2:3], -v[6:7]
	v_add_f64 v[96:97], v[2:3], v[6:7]
	v_add_f64 v[98:99], v[0:1], -v[4:5]
	ds_load_b128 v[48:51], v8 offset:3456
	ds_load_b128 v[0:3], v8 offset:20736
	v_add_f64 v[24:25], v[9:10], v[4:5]
	v_add_f64 v[26:27], v[11:12], v[6:7]
	ds_load_b128 v[4:7], v8 offset:38016
	s_waitcnt lgkmcnt(1)
	v_add_f64 v[9:10], v[48:49], v[0:1]
	v_add_f64 v[11:12], v[50:51], v[2:3]
	v_fma_f64 v[44:45], v[92:93], -0.5, v[44:45]
	v_fma_f64 v[46:47], v[96:97], -0.5, v[46:47]
	s_waitcnt lgkmcnt(0)
	v_add_f64 v[100:101], v[0:1], v[4:5]
	v_add_f64 v[102:103], v[2:3], -v[6:7]
	v_add_f64 v[104:105], v[2:3], v[6:7]
	v_add_f64 v[124:125], v[0:1], -v[4:5]
	v_add_f64 v[0:1], v[9:10], v[4:5]
	v_add_f64 v[2:3], v[11:12], v[6:7]
	ds_load_b128 v[4:7], v8 offset:22464
	ds_load_b128 v[52:55], v8 offset:5184
	;; [unrolled: 1-line block ×3, first 2 shown]
	v_fma_f64 v[48:49], v[100:101], -0.5, v[48:49]
	v_fma_f64 v[50:51], v[104:105], -0.5, v[50:51]
	v_fma_f64 v[104:105], v[94:95], s[8:9], v[44:45]
	s_waitcnt lgkmcnt(1)
	v_add_f64 v[14:15], v[52:53], v[4:5]
	v_add_f64 v[16:17], v[54:55], v[6:7]
	s_waitcnt lgkmcnt(0)
	v_add_f64 v[106:107], v[4:5], v[10:11]
	v_add_f64 v[126:127], v[6:7], -v[12:13]
	v_add_f64 v[108:109], v[6:7], v[12:13]
	v_add_f64 v[129:130], v[4:5], -v[10:11]
	v_fma_f64 v[100:101], v[102:103], s[2:3], v[48:49]
	v_fma_f64 v[96:97], v[102:103], s[8:9], v[48:49]
	;; [unrolled: 1-line block ×3, first 2 shown]
	v_add_f64 v[4:5], v[14:15], v[10:11]
	v_add_f64 v[6:7], v[16:17], v[12:13]
	ds_load_b128 v[56:59], v8 offset:6912
	ds_load_b128 v[10:13], v8 offset:24192
	;; [unrolled: 1-line block ×3, first 2 shown]
	v_fma_f64 v[52:53], v[106:107], -0.5, v[52:53]
	v_fma_f64 v[54:55], v[108:109], -0.5, v[54:55]
	v_fma_f64 v[106:107], v[98:99], s[2:3], v[46:47]
	v_fma_f64 v[108:109], v[94:95], s[2:3], v[44:45]
	s_waitcnt lgkmcnt(1)
	v_add_f64 v[18:19], v[56:57], v[10:11]
	v_add_f64 v[20:21], v[58:59], v[12:13]
	s_waitcnt lgkmcnt(0)
	v_add_f64 v[110:111], v[10:11], v[14:15]
	v_add_f64 v[131:132], v[12:13], -v[16:17]
	v_add_f64 v[112:113], v[12:13], v[16:17]
	v_add_f64 v[133:134], v[10:11], -v[14:15]
	ds_load_b128 v[60:63], v8 offset:8640
	ds_load_b128 v[10:13], v8 offset:25920
	v_fma_f64 v[92:93], v[126:127], s[2:3], v[52:53]
	v_fma_f64 v[94:95], v[129:130], s[8:9], v[54:55]
	;; [unrolled: 1-line block ×3, first 2 shown]
	v_add_f64 v[116:117], v[18:19], v[14:15]
	v_add_f64 v[118:119], v[20:21], v[16:17]
	s_waitcnt lgkmcnt(0)
	v_add_f64 v[18:19], v[60:61], v[10:11]
	v_add_f64 v[20:21], v[62:63], v[12:13]
	ds_load_b128 v[14:17], v8 offset:43200
	v_fma_f64 v[58:59], v[112:113], -0.5, v[58:59]
	v_fma_f64 v[112:113], v[86:87], s[8:9], v[40:41]
	v_fma_f64 v[56:57], v[110:111], -0.5, v[56:57]
	v_fma_f64 v[110:111], v[98:99], s[8:9], v[46:47]
	v_fma_f64 v[98:99], v[124:125], s[2:3], v[50:51]
	s_waitcnt lgkmcnt(0)
	v_add_f64 v[114:115], v[10:11], v[14:15]
	v_add_f64 v[135:136], v[12:13], -v[16:17]
	v_add_f64 v[120:121], v[12:13], v[16:17]
	v_add_f64 v[9:10], v[10:11], -v[14:15]
	v_add_f64 v[12:13], v[18:19], v[14:15]
	v_add_f64 v[14:15], v[20:21], v[16:17]
	ds_load_b128 v[64:67], v8 offset:10368
	ds_load_b128 v[16:19], v8 offset:27648
	;; [unrolled: 1-line block ×3, first 2 shown]
	v_fma_f64 v[84:85], v[131:132], s[2:3], v[56:57]
	s_waitcnt lgkmcnt(1)
	v_add_f64 v[32:33], v[64:65], v[16:17]
	v_add_f64 v[34:35], v[66:67], v[18:19]
	s_waitcnt lgkmcnt(0)
	v_add_f64 v[122:123], v[16:17], v[20:21]
	v_add_f64 v[137:138], v[18:19], -v[22:23]
	v_add_f64 v[139:140], v[18:19], v[22:23]
	v_add_f64 v[141:142], v[16:17], -v[20:21]
	v_fma_f64 v[62:63], v[120:121], -0.5, v[62:63]
	v_fma_f64 v[120:121], v[86:87], s[2:3], v[40:41]
	v_fma_f64 v[60:61], v[114:115], -0.5, v[60:61]
	v_fma_f64 v[114:115], v[90:91], s[2:3], v[42:43]
	v_fma_f64 v[86:87], v[133:134], s[8:9], v[58:59]
	v_add_f64 v[16:17], v[32:33], v[20:21]
	v_add_f64 v[18:19], v[34:35], v[22:23]
	ds_load_b128 v[20:23], v8 offset:29376
	ds_load_b128 v[68:71], v8 offset:12096
	;; [unrolled: 1-line block ×3, first 2 shown]
	v_fma_f64 v[66:67], v[139:140], -0.5, v[66:67]
	v_fma_f64 v[64:65], v[122:123], -0.5, v[64:65]
	v_fma_f64 v[122:123], v[90:91], s[8:9], v[42:43]
	v_fma_f64 v[90:91], v[129:130], s[2:3], v[54:55]
	s_waitcnt lgkmcnt(1)
	v_add_f64 v[36:37], v[68:69], v[20:21]
	v_add_f64 v[38:39], v[70:71], v[22:23]
	s_waitcnt lgkmcnt(0)
	v_add_f64 v[143:144], v[20:21], v[32:33]
	v_add_f64 v[145:146], v[22:23], -v[34:35]
	v_add_f64 v[147:148], v[22:23], v[34:35]
	v_add_f64 v[149:150], v[20:21], -v[32:33]
	v_add_f64 v[20:21], v[36:37], v[32:33]
	v_add_f64 v[22:23], v[38:39], v[34:35]
	ds_load_b128 v[72:75], v8 offset:13824
	ds_load_b128 v[32:35], v8 offset:31104
	;; [unrolled: 1-line block ×3, first 2 shown]
	v_fma_f64 v[139:140], v[143:144], -0.5, v[68:69]
	v_fma_f64 v[143:144], v[147:148], -0.5, v[70:71]
	v_fma_f64 v[68:69], v[137:138], s[2:3], v[64:65]
	v_fma_f64 v[70:71], v[141:142], s[8:9], v[66:67]
	;; [unrolled: 1-line block ×4, first 2 shown]
	s_waitcnt lgkmcnt(1)
	v_add_f64 v[76:77], v[72:73], v[32:33]
	v_add_f64 v[78:79], v[74:75], v[34:35]
	s_waitcnt lgkmcnt(0)
	v_add_f64 v[153:154], v[32:33], v[36:37]
	v_add_f64 v[155:156], v[34:35], -v[38:39]
	v_add_f64 v[157:158], v[34:35], v[38:39]
	v_add_f64 v[159:160], v[32:33], -v[36:37]
	v_add_f64 v[32:33], v[76:77], v[36:37]
	v_add_f64 v[34:35], v[78:79], v[38:39]
	ds_load_b128 v[76:79], v8 offset:15552
	ds_load_b128 v[36:39], v8 offset:32832
	ds_load_b128 v[80:83], v8 offset:50112
	v_fma_f64 v[147:148], v[153:154], -0.5, v[72:73]
	v_fma_f64 v[153:154], v[157:158], -0.5, v[74:75]
	v_fma_f64 v[74:75], v[9:10], s[2:3], v[62:63]
	v_fma_f64 v[72:73], v[135:136], s[8:9], v[60:61]
	s_waitcnt lgkmcnt(1)
	v_add_f64 v[161:162], v[76:77], v[36:37]
	s_waitcnt lgkmcnt(0)
	v_add_f64 v[167:168], v[38:39], v[82:83]
	v_add_f64 v[163:164], v[78:79], v[38:39]
	;; [unrolled: 1-line block ×3, first 2 shown]
	v_add_f64 v[171:172], v[36:37], -v[80:81]
	v_add_f64 v[169:170], v[38:39], -v[82:83]
	v_fma_f64 v[52:53], v[155:156], s[2:3], v[147:148]
	v_fma_f64 v[48:49], v[155:156], s[8:9], v[147:148]
	v_add_co_u32 v156, null, 0x6c, v207
	v_add_co_u32 v155, null, 0xd8, v207
	v_fma_f64 v[54:55], v[159:160], s[8:9], v[153:154]
	v_fma_f64 v[50:51], v[159:160], s[2:3], v[153:154]
	v_add_co_u32 v154, null, 0x144, v207
	v_add_co_u32 v153, null, 0x1b0, v207
	v_and_b32_e32 v160, 0xff, v156
	v_and_b32_e32 v159, 0xffff, v155
	v_add_f64 v[36:37], v[161:162], v[80:81]
	v_fma_f64 v[161:162], v[167:168], -0.5, v[78:79]
	v_fma_f64 v[78:79], v[9:10], s[8:9], v[62:63]
	v_mul_lo_u16 v9, v152, 3
	v_add_f64 v[38:39], v[163:164], v[82:83]
	v_fma_f64 v[80:81], v[131:132], s[8:9], v[56:57]
	v_fma_f64 v[82:83], v[133:134], s[2:3], v[58:59]
	v_fma_f64 v[157:158], v[165:166], -0.5, v[76:77]
	v_and_b32_e32 v9, 0xffff, v9
	v_fma_f64 v[76:77], v[135:136], s[2:3], v[60:61]
	v_fma_f64 v[60:61], v[145:146], s[2:3], v[139:140]
	;; [unrolled: 1-line block ×4, first 2 shown]
	v_lshlrev_b32_e32 v9, 4, v9
	v_fma_f64 v[58:59], v[149:150], s[2:3], v[143:144]
	scratch_store_b32 off, v9, off offset:836 ; 4-byte Folded Spill
	s_waitcnt_vscnt null, 0x0
	s_barrier
	buffer_gl0_inv
	ds_store_b128 v9, v[28:31]
	ds_store_b128 v9, v[120:123] offset:16
	ds_store_b128 v9, v[112:115] offset:32
	v_mul_u32_u24_e32 v9, 3, v156
	s_delay_alu instid0(VALU_DEP_1)
	v_lshlrev_b32_e32 v9, 4, v9
	ds_store_b128 v9, v[24:27]
	ds_store_b128 v9, v[108:111] offset:16
	scratch_store_b32 off, v9, off offset:920 ; 4-byte Folded Spill
	ds_store_b128 v9, v[104:107] offset:32
	v_mul_u32_u24_e32 v9, 3, v155
	v_add_co_u32 v24, null, 0x288, v207
	v_add_co_u32 v25, null, 0x2f4, v207
	s_delay_alu instid0(VALU_DEP_3)
	v_lshlrev_b32_e32 v9, 4, v9
	v_fma_f64 v[46:47], v[171:172], s[8:9], v[161:162]
	v_fma_f64 v[42:43], v[171:172], s[2:3], v[161:162]
	v_add_co_u32 v26, null, 0x360, v207
	scratch_store_b32 off, v9, off offset:944 ; 4-byte Folded Spill
	ds_store_b128 v9, v[0:3]
	ds_store_b128 v9, v[100:103] offset:16
	ds_store_b128 v9, v[96:99] offset:32
	v_mul_u32_u24_e32 v0, 3, v154
	v_add_co_u32 v9, null, 0x21c, v207
	v_fma_f64 v[44:45], v[169:170], s[2:3], v[157:158]
	v_fma_f64 v[40:41], v[169:170], s[8:9], v[157:158]
	s_delay_alu instid0(VALU_DEP_4)
	v_lshlrev_b32_e32 v0, 4, v0
	v_and_b32_e32 v158, 0xffff, v154
	v_and_b32_e32 v157, 0xffff, v153
	scratch_store_b32 off, v0, off offset:932 ; 4-byte Folded Spill
	ds_store_b128 v0, v[4:7]
	ds_store_b128 v0, v[92:95] offset:16
	ds_store_b128 v0, v[88:91] offset:32
	v_mul_u32_u24_e32 v0, 3, v153
	s_delay_alu instid0(VALU_DEP_1)
	v_lshlrev_b32_e32 v0, 4, v0
	scratch_store_b32 off, v0, off offset:924 ; 4-byte Folded Spill
	ds_store_b128 v0, v[116:119]
	ds_store_b128 v0, v[84:87] offset:16
	ds_store_b128 v0, v[80:83] offset:32
	v_mul_u32_u24_e32 v0, 3, v9
	s_delay_alu instid0(VALU_DEP_1)
	v_lshlrev_b32_e32 v0, 4, v0
	;; [unrolled: 7-line block ×5, first 2 shown]
	scratch_store_b32 off, v0, off offset:784 ; 4-byte Folded Spill
	ds_store_b128 v0, v[32:35]
	ds_store_b128 v0, v[52:55] offset:16
	ds_store_b128 v0, v[48:51] offset:32
	v_add_co_u32 v35, null, 0x3cc, v207
	s_delay_alu instid0(VALU_DEP_1) | instskip(NEXT) | instid1(VALU_DEP_1)
	v_mul_u32_u24_e32 v0, 3, v35
	v_lshlrev_b32_e32 v0, 4, v0
	scratch_store_b32 off, v0, off offset:748 ; 4-byte Folded Spill
	ds_store_b128 v0, v[36:39]
	ds_store_b128 v0, v[44:47] offset:16
	ds_store_b128 v0, v[40:43] offset:32
	v_and_b32_e32 v0, 0xff, v152
	s_waitcnt lgkmcnt(0)
	s_waitcnt_vscnt null, 0x0
	s_barrier
	buffer_gl0_inv
	ds_load_b128 v[10:13], v8 offset:17280
	v_mul_lo_u16 v1, 0xab, v0
	v_mul_lo_u16 v0, v0, 57
	s_delay_alu instid0(VALU_DEP_2) | instskip(NEXT) | instid1(VALU_DEP_1)
	v_lshrrev_b16 v3, 9, v1
	v_mul_lo_u16 v1, v3, 3
	v_and_b32_e32 v3, 0xffff, v3
	s_delay_alu instid0(VALU_DEP_2) | instskip(NEXT) | instid1(VALU_DEP_2)
	v_sub_nc_u16 v1, v152, v1
	v_mul_u32_u24_e32 v3, 9, v3
	s_delay_alu instid0(VALU_DEP_2) | instskip(NEXT) | instid1(VALU_DEP_1)
	v_and_b32_e32 v4, 0xff, v1
	v_lshlrev_b32_e32 v5, 5, v4
	s_delay_alu instid0(VALU_DEP_3)
	v_add_lshl_u32 v3, v3, v4, 4
	global_load_b128 v[14:17], v5, s[10:11]
	scratch_store_b32 off, v3, off offset:1012 ; 4-byte Folded Spill
	s_waitcnt vmcnt(0) lgkmcnt(0)
	v_mul_f64 v[1:2], v[12:13], v[16:17]
	scratch_store_b128 off, v[14:17], off offset:492 ; 16-byte Folded Spill
	v_fma_f64 v[27:28], v[10:11], v[14:15], -v[1:2]
	v_mul_f64 v[1:2], v[10:11], v[16:17]
	s_delay_alu instid0(VALU_DEP_1)
	v_fma_f64 v[29:30], v[12:13], v[14:15], v[1:2]
	global_load_b128 v[14:17], v5, s[10:11] offset:16
	ds_load_b128 v[10:13], v8 offset:34560
	s_waitcnt vmcnt(0) lgkmcnt(0)
	v_mul_f64 v[1:2], v[12:13], v[16:17]
	scratch_store_b128 off, v[14:17], off offset:508 ; 16-byte Folded Spill
	v_fma_f64 v[31:32], v[10:11], v[14:15], -v[1:2]
	v_mul_f64 v[1:2], v[10:11], v[16:17]
	s_delay_alu instid0(VALU_DEP_1) | instskip(SKIP_3) | instid1(VALU_DEP_1)
	v_fma_f64 v[33:34], v[12:13], v[14:15], v[1:2]
	v_mul_lo_u16 v1, 0xab, v160
	ds_load_b128 v[10:13], v8 offset:19008
	v_lshrrev_b16 v5, 9, v1
	v_mul_lo_u16 v1, v5, 3
	s_delay_alu instid0(VALU_DEP_1) | instskip(NEXT) | instid1(VALU_DEP_1)
	v_sub_nc_u16 v1, v156, v1
	v_and_b32_e32 v6, 0xff, v1
	s_delay_alu instid0(VALU_DEP_1)
	v_lshlrev_b32_e32 v7, 5, v6
	global_load_b128 v[14:17], v7, s[10:11]
	v_add_f64 v[37:38], v[29:30], v[33:34]
	s_waitcnt vmcnt(0) lgkmcnt(0)
	v_mul_f64 v[1:2], v[12:13], v[16:17]
	scratch_store_b128 off, v[14:17], off offset:524 ; 16-byte Folded Spill
	v_fma_f64 v[39:40], v[10:11], v[14:15], -v[1:2]
	v_mul_f64 v[1:2], v[10:11], v[16:17]
	s_delay_alu instid0(VALU_DEP_1)
	v_fma_f64 v[41:42], v[12:13], v[14:15], v[1:2]
	global_load_b128 v[14:17], v7, s[10:11] offset:16
	ds_load_b128 v[10:13], v8 offset:36288
	s_waitcnt vmcnt(0) lgkmcnt(0)
	v_mul_f64 v[1:2], v[12:13], v[16:17]
	scratch_store_b128 off, v[14:17], off offset:540 ; 16-byte Folded Spill
	v_fma_f64 v[43:44], v[10:11], v[14:15], -v[1:2]
	v_mul_f64 v[1:2], v[10:11], v[16:17]
	s_delay_alu instid0(VALU_DEP_1) | instskip(SKIP_3) | instid1(VALU_DEP_1)
	v_fma_f64 v[45:46], v[12:13], v[14:15], v[1:2]
	v_mul_u32_u24_e32 v1, 0xaaab, v159
	ds_load_b128 v[11:14], v8 offset:20736
	v_lshrrev_b32_e32 v7, 17, v1
	v_mul_lo_u16 v1, v7, 3
	s_delay_alu instid0(VALU_DEP_1) | instskip(NEXT) | instid1(VALU_DEP_1)
	v_sub_nc_u16 v10, v155, v1
	v_lshlrev_b16 v1, 1, v10
	s_delay_alu instid0(VALU_DEP_1) | instskip(NEXT) | instid1(VALU_DEP_1)
	v_and_b32_e32 v1, 0xffff, v1
	v_lshlrev_b32_e32 v15, 4, v1
	global_load_b128 v[16:19], v15, s[10:11]
	s_waitcnt vmcnt(0) lgkmcnt(0)
	v_mul_f64 v[1:2], v[13:14], v[18:19]
	scratch_store_b128 off, v[16:19], off offset:556 ; 16-byte Folded Spill
	v_fma_f64 v[51:52], v[11:12], v[16:17], -v[1:2]
	v_mul_f64 v[1:2], v[11:12], v[18:19]
	s_delay_alu instid0(VALU_DEP_1)
	v_fma_f64 v[53:54], v[13:14], v[16:17], v[1:2]
	global_load_b128 v[15:18], v15, s[10:11] offset:16
	ds_load_b128 v[11:14], v8 offset:38016
	s_waitcnt vmcnt(0) lgkmcnt(0)
	v_mul_f64 v[1:2], v[13:14], v[17:18]
	scratch_store_b128 off, v[15:18], off offset:572 ; 16-byte Folded Spill
	v_fma_f64 v[55:56], v[11:12], v[15:16], -v[1:2]
	v_mul_f64 v[1:2], v[11:12], v[17:18]
	s_delay_alu instid0(VALU_DEP_2) | instskip(NEXT) | instid1(VALU_DEP_2)
	v_add_f64 v[59:60], v[51:52], v[55:56]
	v_fma_f64 v[57:58], v[13:14], v[15:16], v[1:2]
	v_mul_u32_u24_e32 v1, 0xaaab, v158
	ds_load_b128 v[13:16], v8 offset:22464
	v_lshrrev_b32_e32 v11, 17, v1
	s_delay_alu instid0(VALU_DEP_1) | instskip(NEXT) | instid1(VALU_DEP_1)
	v_mul_lo_u16 v1, v11, 3
	v_sub_nc_u16 v12, v154, v1
	s_delay_alu instid0(VALU_DEP_1) | instskip(NEXT) | instid1(VALU_DEP_1)
	v_lshlrev_b16 v1, 1, v12
	v_and_b32_e32 v1, 0xffff, v1
	s_delay_alu instid0(VALU_DEP_1)
	v_lshlrev_b32_e32 v17, 4, v1
	global_load_b128 v[18:21], v17, s[10:11]
	v_add_f64 v[61:62], v[53:54], v[57:58]
	s_waitcnt vmcnt(0) lgkmcnt(0)
	v_mul_f64 v[1:2], v[15:16], v[20:21]
	scratch_store_b128 off, v[18:21], off offset:588 ; 16-byte Folded Spill
	v_fma_f64 v[63:64], v[13:14], v[18:19], -v[1:2]
	v_mul_f64 v[1:2], v[13:14], v[20:21]
	s_delay_alu instid0(VALU_DEP_1)
	v_fma_f64 v[65:66], v[15:16], v[18:19], v[1:2]
	global_load_b128 v[17:20], v17, s[10:11] offset:16
	ds_load_b128 v[13:16], v8 offset:39744
	s_waitcnt vmcnt(0) lgkmcnt(0)
	v_mul_f64 v[1:2], v[15:16], v[19:20]
	scratch_store_b128 off, v[17:20], off offset:604 ; 16-byte Folded Spill
	v_fma_f64 v[67:68], v[13:14], v[17:18], -v[1:2]
	v_mul_f64 v[1:2], v[13:14], v[19:20]
	s_delay_alu instid0(VALU_DEP_2) | instskip(NEXT) | instid1(VALU_DEP_2)
	v_add_f64 v[71:72], v[63:64], v[67:68]
	v_fma_f64 v[69:70], v[15:16], v[17:18], v[1:2]
	v_mul_u32_u24_e32 v1, 0xaaab, v157
	ds_load_b128 v[15:18], v8 offset:24192
	v_lshrrev_b32_e32 v13, 17, v1
	s_delay_alu instid0(VALU_DEP_1) | instskip(NEXT) | instid1(VALU_DEP_1)
	v_mul_lo_u16 v1, v13, 3
	v_sub_nc_u16 v14, v153, v1
	s_delay_alu instid0(VALU_DEP_1) | instskip(NEXT) | instid1(VALU_DEP_1)
	v_lshlrev_b16 v1, 1, v14
	v_and_b32_e32 v1, 0xffff, v1
	s_delay_alu instid0(VALU_DEP_1)
	v_lshlrev_b32_e32 v19, 4, v1
	global_load_b128 v[20:23], v19, s[10:11]
	v_add_f64 v[73:74], v[65:66], v[69:70]
	s_waitcnt vmcnt(0) lgkmcnt(0)
	v_mul_f64 v[1:2], v[17:18], v[22:23]
	scratch_store_b128 off, v[20:23], off offset:620 ; 16-byte Folded Spill
	v_fma_f64 v[75:76], v[15:16], v[20:21], -v[1:2]
	v_mul_f64 v[1:2], v[15:16], v[22:23]
	s_delay_alu instid0(VALU_DEP_1) | instskip(SKIP_4) | instid1(VALU_DEP_1)
	v_fma_f64 v[77:78], v[17:18], v[20:21], v[1:2]
	global_load_b128 v[19:22], v19, s[10:11] offset:16
	ds_load_b128 v[15:18], v8 offset:41472
	s_waitcnt vmcnt(0) lgkmcnt(0)
	v_mul_f64 v[1:2], v[17:18], v[21:22]
	v_fma_f64 v[79:80], v[15:16], v[19:20], -v[1:2]
	v_mul_f64 v[1:2], v[15:16], v[21:22]
	s_delay_alu instid0(VALU_DEP_2) | instskip(NEXT) | instid1(VALU_DEP_2)
	v_add_f64 v[83:84], v[75:76], v[79:80]
	v_fma_f64 v[81:82], v[17:18], v[19:20], v[1:2]
	v_and_b32_e32 v1, 0xffff, v9
	s_delay_alu instid0(VALU_DEP_1) | instskip(NEXT) | instid1(VALU_DEP_1)
	v_mul_u32_u24_e32 v1, 0xaaab, v1
	v_lshrrev_b32_e32 v15, 17, v1
	s_delay_alu instid0(VALU_DEP_1) | instskip(NEXT) | instid1(VALU_DEP_1)
	v_mul_lo_u16 v1, v15, 3
	v_sub_nc_u16 v16, v9, v1
	s_delay_alu instid0(VALU_DEP_1) | instskip(NEXT) | instid1(VALU_DEP_1)
	v_lshlrev_b16 v1, 1, v16
	v_and_b32_e32 v1, 0xffff, v1
	s_delay_alu instid0(VALU_DEP_1)
	v_lshlrev_b32_e32 v9, 4, v1
	v_add_f64 v[85:86], v[77:78], v[81:82]
	global_load_b128 v[47:50], v9, s[10:11]
	scratch_store_b128 off, v[19:22], off offset:636 ; 16-byte Folded Spill
	ds_load_b128 v[17:20], v8 offset:25920
	s_waitcnt vmcnt(0)
	scratch_store_b128 off, v[47:50], off offset:652 ; 16-byte Folded Spill
	s_waitcnt lgkmcnt(0)
	v_mul_f64 v[1:2], v[19:20], v[49:50]
	s_delay_alu instid0(VALU_DEP_1) | instskip(SKIP_1) | instid1(VALU_DEP_1)
	v_fma_f64 v[87:88], v[17:18], v[47:48], -v[1:2]
	v_mul_f64 v[1:2], v[17:18], v[49:50]
	v_fma_f64 v[89:90], v[19:20], v[47:48], v[1:2]
	global_load_b128 v[47:50], v9, s[10:11] offset:16
	ds_load_b128 v[17:20], v8 offset:43200
	s_waitcnt vmcnt(0) lgkmcnt(0)
	v_mul_f64 v[1:2], v[19:20], v[49:50]
	scratch_store_b128 off, v[47:50], off offset:668 ; 16-byte Folded Spill
	v_fma_f64 v[91:92], v[17:18], v[47:48], -v[1:2]
	v_mul_f64 v[1:2], v[17:18], v[49:50]
	s_delay_alu instid0(VALU_DEP_2) | instskip(NEXT) | instid1(VALU_DEP_2)
	v_add_f64 v[95:96], v[87:88], v[91:92]
	v_fma_f64 v[93:94], v[19:20], v[47:48], v[1:2]
	v_and_b32_e32 v1, 0xffff, v24
	ds_load_b128 v[19:22], v8 offset:27648
	v_mul_u32_u24_e32 v1, 0xaaab, v1
	s_delay_alu instid0(VALU_DEP_1) | instskip(NEXT) | instid1(VALU_DEP_1)
	v_lshrrev_b32_e32 v17, 17, v1
	v_mul_lo_u16 v1, v17, 3
	s_delay_alu instid0(VALU_DEP_1) | instskip(NEXT) | instid1(VALU_DEP_1)
	v_sub_nc_u16 v18, v24, v1
	v_lshlrev_b16 v1, 1, v18
	s_delay_alu instid0(VALU_DEP_1) | instskip(NEXT) | instid1(VALU_DEP_1)
	v_and_b32_e32 v1, 0xffff, v1
	v_lshlrev_b32_e32 v9, 4, v1
	v_add_f64 v[97:98], v[89:90], v[93:94]
	global_load_b128 v[47:50], v9, s[10:11]
	s_waitcnt vmcnt(0) lgkmcnt(0)
	v_mul_f64 v[1:2], v[21:22], v[49:50]
	scratch_store_b128 off, v[47:50], off offset:684 ; 16-byte Folded Spill
	v_fma_f64 v[99:100], v[19:20], v[47:48], -v[1:2]
	v_mul_f64 v[1:2], v[19:20], v[49:50]
	s_delay_alu instid0(VALU_DEP_1)
	v_fma_f64 v[101:102], v[21:22], v[47:48], v[1:2]
	global_load_b128 v[47:50], v9, s[10:11] offset:16
	ds_load_b128 v[19:22], v8 offset:44928
	s_waitcnt vmcnt(0) lgkmcnt(0)
	v_mul_f64 v[1:2], v[21:22], v[49:50]
	scratch_store_b128 off, v[47:50], off offset:700 ; 16-byte Folded Spill
	v_fma_f64 v[103:104], v[19:20], v[47:48], -v[1:2]
	v_mul_f64 v[1:2], v[19:20], v[49:50]
	s_delay_alu instid0(VALU_DEP_2) | instskip(NEXT) | instid1(VALU_DEP_2)
	v_add_f64 v[107:108], v[99:100], v[103:104]
	v_fma_f64 v[105:106], v[21:22], v[47:48], v[1:2]
	v_and_b32_e32 v1, 0xffff, v25
	ds_load_b128 v[21:24], v8 offset:29376
	v_mul_u32_u24_e32 v1, 0xaaab, v1
	s_delay_alu instid0(VALU_DEP_1) | instskip(NEXT) | instid1(VALU_DEP_1)
	v_lshrrev_b32_e32 v19, 17, v1
	v_mul_lo_u16 v1, v19, 3
	s_delay_alu instid0(VALU_DEP_1) | instskip(NEXT) | instid1(VALU_DEP_1)
	v_sub_nc_u16 v20, v25, v1
	v_lshlrev_b16 v1, 1, v20
	s_delay_alu instid0(VALU_DEP_1) | instskip(NEXT) | instid1(VALU_DEP_1)
	v_and_b32_e32 v1, 0xffff, v1
	v_lshlrev_b32_e32 v9, 4, v1
	v_add_f64 v[109:110], v[101:102], v[105:106]
	global_load_b128 v[47:50], v9, s[10:11]
	s_waitcnt vmcnt(0) lgkmcnt(0)
	v_mul_f64 v[1:2], v[23:24], v[49:50]
	scratch_store_b128 off, v[47:50], off offset:716 ; 16-byte Folded Spill
	v_fma_f64 v[111:112], v[21:22], v[47:48], -v[1:2]
	v_mul_f64 v[1:2], v[21:22], v[49:50]
	s_delay_alu instid0(VALU_DEP_1)
	v_fma_f64 v[113:114], v[23:24], v[47:48], v[1:2]
	global_load_b128 v[47:50], v9, s[10:11] offset:16
	ds_load_b128 v[21:24], v8 offset:46656
	s_waitcnt vmcnt(0) lgkmcnt(0)
	v_mul_f64 v[1:2], v[23:24], v[49:50]
	scratch_store_b128 off, v[47:50], off offset:732 ; 16-byte Folded Spill
	v_fma_f64 v[115:116], v[21:22], v[47:48], -v[1:2]
	v_mul_f64 v[1:2], v[21:22], v[49:50]
	s_delay_alu instid0(VALU_DEP_2) | instskip(NEXT) | instid1(VALU_DEP_2)
	v_add_f64 v[119:120], v[111:112], v[115:116]
	v_fma_f64 v[117:118], v[23:24], v[47:48], v[1:2]
	v_and_b32_e32 v1, 0xffff, v26
	s_delay_alu instid0(VALU_DEP_1) | instskip(NEXT) | instid1(VALU_DEP_1)
	v_mul_u32_u24_e32 v1, 0xaaab, v1
	v_lshrrev_b32_e32 v21, 17, v1
	s_delay_alu instid0(VALU_DEP_1) | instskip(NEXT) | instid1(VALU_DEP_1)
	v_mul_lo_u16 v1, v21, 3
	v_sub_nc_u16 v22, v26, v1
	ds_load_b128 v[23:26], v8 offset:31104
	v_lshlrev_b16 v1, 1, v22
	s_delay_alu instid0(VALU_DEP_1) | instskip(NEXT) | instid1(VALU_DEP_1)
	v_and_b32_e32 v1, 0xffff, v1
	v_lshlrev_b32_e32 v9, 4, v1
	v_add_f64 v[121:122], v[113:114], v[117:118]
	global_load_b128 v[47:50], v9, s[10:11]
	s_waitcnt vmcnt(0) lgkmcnt(0)
	v_mul_f64 v[1:2], v[25:26], v[49:50]
	scratch_store_b128 off, v[47:50], off offset:752 ; 16-byte Folded Spill
	v_fma_f64 v[123:124], v[23:24], v[47:48], -v[1:2]
	v_mul_f64 v[1:2], v[23:24], v[49:50]
	s_delay_alu instid0(VALU_DEP_1)
	v_fma_f64 v[125:126], v[25:26], v[47:48], v[1:2]
	global_load_b128 v[47:50], v9, s[10:11] offset:16
	ds_load_b128 v[23:26], v8 offset:48384
	s_waitcnt vmcnt(0) lgkmcnt(0)
	v_mul_f64 v[1:2], v[25:26], v[49:50]
	scratch_store_b128 off, v[47:50], off offset:768 ; 16-byte Folded Spill
	v_fma_f64 v[129:130], v[23:24], v[47:48], -v[1:2]
	v_mul_f64 v[1:2], v[23:24], v[49:50]
	s_delay_alu instid0(VALU_DEP_2) | instskip(NEXT) | instid1(VALU_DEP_2)
	v_add_f64 v[133:134], v[123:124], v[129:130]
	v_fma_f64 v[131:132], v[25:26], v[47:48], v[1:2]
	v_and_b32_e32 v1, 0xffff, v35
	ds_load_b128 v[23:26], v8 offset:32832
	v_mul_u32_u24_e32 v1, 0xaaab, v1
	s_delay_alu instid0(VALU_DEP_1) | instskip(NEXT) | instid1(VALU_DEP_1)
	v_lshrrev_b32_e32 v1, 17, v1
	v_mul_lo_u16 v2, v1, 3
	s_delay_alu instid0(VALU_DEP_1) | instskip(NEXT) | instid1(VALU_DEP_1)
	v_sub_nc_u16 v2, v35, v2
	v_lshlrev_b16 v9, 1, v2
	v_mad_u16 v1, v1, 9, v2
	s_delay_alu instid0(VALU_DEP_2) | instskip(NEXT) | instid1(VALU_DEP_2)
	v_and_b32_e32 v9, 0xffff, v9
	v_and_b32_e32 v1, 0xffff, v1
	s_delay_alu instid0(VALU_DEP_2) | instskip(NEXT) | instid1(VALU_DEP_2)
	v_lshlrev_b32_e32 v9, 4, v9
	v_lshlrev_b32_e32 v1, 4, v1
	v_add_f64 v[135:136], v[125:126], v[131:132]
	global_load_b128 v[47:50], v9, s[10:11]
	s_waitcnt vmcnt(0) lgkmcnt(0)
	v_mul_f64 v[35:36], v[25:26], v[49:50]
	scratch_store_b128 off, v[47:50], off offset:796 ; 16-byte Folded Spill
	v_fma_f64 v[137:138], v[23:24], v[47:48], -v[35:36]
	v_mul_f64 v[23:24], v[23:24], v[49:50]
	s_delay_alu instid0(VALU_DEP_1)
	v_fma_f64 v[139:140], v[25:26], v[47:48], v[23:24]
	global_load_b128 v[47:50], v9, s[10:11] offset:16
	ds_load_b128 v[23:26], v8 offset:50112
	s_waitcnt vmcnt(0) lgkmcnt(0)
	v_mul_f64 v[35:36], v[25:26], v[49:50]
	scratch_store_b128 off, v[47:50], off offset:812 ; 16-byte Folded Spill
	v_fma_f64 v[141:142], v[23:24], v[47:48], -v[35:36]
	v_mul_f64 v[23:24], v[23:24], v[49:50]
	v_add_f64 v[35:36], v[27:28], v[31:32]
	v_add_f64 v[49:50], v[41:42], v[45:46]
	s_delay_alu instid0(VALU_DEP_4) | instskip(NEXT) | instid1(VALU_DEP_4)
	v_add_f64 v[145:146], v[137:138], v[141:142]
	v_fma_f64 v[143:144], v[25:26], v[47:48], v[23:24]
	ds_load_b128 v[23:26], v8
	v_add_f64 v[47:48], v[39:40], v[43:44]
	s_waitcnt lgkmcnt(0)
	v_fma_f64 v[37:38], v[37:38], -0.5, v[25:26]
	v_add_f64 v[25:26], v[25:26], v[29:30]
	v_fma_f64 v[35:36], v[35:36], -0.5, v[23:24]
	v_add_f64 v[23:24], v[23:24], v[27:28]
	v_add_f64 v[29:30], v[29:30], -v[33:34]
	v_add_f64 v[147:148], v[139:140], v[143:144]
	v_add_f64 v[25:26], v[25:26], v[33:34]
	v_add_f64 v[33:34], v[27:28], -v[31:32]
	v_add_f64 v[23:24], v[23:24], v[31:32]
	v_fma_f64 v[27:28], v[29:30], s[2:3], v[35:36]
	v_fma_f64 v[31:32], v[29:30], s[8:9], v[35:36]
	s_delay_alu instid0(VALU_DEP_4)
	v_fma_f64 v[29:30], v[33:34], s[8:9], v[37:38]
	v_fma_f64 v[33:34], v[33:34], s[2:3], v[37:38]
	ds_load_b128 v[35:38], v8 offset:1728
	s_waitcnt lgkmcnt(0)
	v_fma_f64 v[49:50], v[49:50], -0.5, v[37:38]
	v_add_f64 v[37:38], v[37:38], v[41:42]
	v_fma_f64 v[47:48], v[47:48], -0.5, v[35:36]
	v_add_f64 v[35:36], v[35:36], v[39:40]
	v_add_f64 v[41:42], v[41:42], -v[45:46]
	s_delay_alu instid0(VALU_DEP_4) | instskip(SKIP_1) | instid1(VALU_DEP_4)
	v_add_f64 v[37:38], v[37:38], v[45:46]
	v_add_f64 v[45:46], v[39:40], -v[43:44]
	v_add_f64 v[35:36], v[35:36], v[43:44]
	s_delay_alu instid0(VALU_DEP_4) | instskip(SKIP_1) | instid1(VALU_DEP_4)
	v_fma_f64 v[39:40], v[41:42], s[2:3], v[47:48]
	v_fma_f64 v[43:44], v[41:42], s[8:9], v[47:48]
	v_fma_f64 v[41:42], v[45:46], s[8:9], v[49:50]
	v_fma_f64 v[45:46], v[45:46], s[2:3], v[49:50]
	ds_load_b128 v[47:50], v8 offset:3456
	s_waitcnt lgkmcnt(0)
	v_fma_f64 v[61:62], v[61:62], -0.5, v[49:50]
	v_add_f64 v[49:50], v[49:50], v[53:54]
	v_fma_f64 v[59:60], v[59:60], -0.5, v[47:48]
	v_add_f64 v[47:48], v[47:48], v[51:52]
	v_add_f64 v[53:54], v[53:54], -v[57:58]
	s_delay_alu instid0(VALU_DEP_4) | instskip(SKIP_1) | instid1(VALU_DEP_4)
	v_add_f64 v[49:50], v[49:50], v[57:58]
	v_add_f64 v[57:58], v[51:52], -v[55:56]
	v_add_f64 v[47:48], v[47:48], v[55:56]
	s_delay_alu instid0(VALU_DEP_4) | instskip(SKIP_1) | instid1(VALU_DEP_4)
	v_fma_f64 v[51:52], v[53:54], s[2:3], v[59:60]
	v_fma_f64 v[55:56], v[53:54], s[8:9], v[59:60]
	;; [unrolled: 16-line block ×8, first 2 shown]
	v_fma_f64 v[125:126], v[131:132], s[8:9], v[135:136]
	v_fma_f64 v[131:132], v[131:132], s[2:3], v[135:136]
	ds_load_b128 v[133:136], v8 offset:15552
	s_waitcnt lgkmcnt(0)
	s_waitcnt_vscnt null, 0x0
	s_barrier
	buffer_gl0_inv
	ds_store_b128 v3, v[23:26]
	ds_store_b128 v3, v[27:30] offset:48
	ds_store_b128 v3, v[31:34] offset:96
	v_and_b32_e32 v3, 0xffff, v5
	s_delay_alu instid0(VALU_DEP_1) | instskip(NEXT) | instid1(VALU_DEP_1)
	v_mul_u32_u24_e32 v3, 9, v3
	v_add_lshl_u32 v3, v3, v6, 4
	scratch_store_b32 off, v3, off offset:940 ; 4-byte Folded Spill
	ds_store_b128 v3, v[35:38]
	ds_store_b128 v3, v[39:42] offset:48
	ds_store_b128 v3, v[43:46] offset:96
	v_mad_u16 v3, v7, 9, v10
	v_fma_f64 v[147:148], v[147:148], -0.5, v[135:136]
	v_add_f64 v[135:136], v[135:136], v[139:140]
	v_fma_f64 v[145:146], v[145:146], -0.5, v[133:134]
	v_add_f64 v[133:134], v[133:134], v[137:138]
	v_and_b32_e32 v3, 0xffff, v3
	v_add_f64 v[139:140], v[139:140], -v[143:144]
	s_delay_alu instid0(VALU_DEP_2)
	v_lshlrev_b32_e32 v3, 4, v3
	scratch_store_b32 off, v3, off offset:936 ; 4-byte Folded Spill
	ds_store_b128 v3, v[47:50]
	ds_store_b128 v3, v[51:54] offset:48
	ds_store_b128 v3, v[55:58] offset:96
	v_mad_u16 v3, v11, 9, v12
	s_delay_alu instid0(VALU_DEP_1) | instskip(NEXT) | instid1(VALU_DEP_1)
	v_and_b32_e32 v3, 0xffff, v3
	v_lshlrev_b32_e32 v3, 4, v3
	scratch_store_b32 off, v3, off offset:928 ; 4-byte Folded Spill
	ds_store_b128 v3, v[59:62]
	ds_store_b128 v3, v[63:66] offset:48
	ds_store_b128 v3, v[67:70] offset:96
	v_mad_u16 v3, v13, 9, v14
	s_delay_alu instid0(VALU_DEP_1) | instskip(SKIP_3) | instid1(VALU_DEP_4)
	v_and_b32_e32 v3, 0xffff, v3
	v_add_f64 v[135:136], v[135:136], v[143:144]
	v_add_f64 v[143:144], v[137:138], -v[141:142]
	v_add_f64 v[133:134], v[133:134], v[141:142]
	v_lshlrev_b32_e32 v3, 4, v3
	v_fma_f64 v[137:138], v[139:140], s[2:3], v[145:146]
	v_fma_f64 v[141:142], v[139:140], s[8:9], v[145:146]
	scratch_store_b32 off, v3, off offset:900 ; 4-byte Folded Spill
	ds_store_b128 v3, v[71:74]
	ds_store_b128 v3, v[75:78] offset:48
	ds_store_b128 v3, v[79:82] offset:96
	v_mad_u16 v3, v15, 9, v16
	s_delay_alu instid0(VALU_DEP_1) | instskip(NEXT) | instid1(VALU_DEP_1)
	v_and_b32_e32 v3, 0xffff, v3
	v_lshlrev_b32_e32 v3, 4, v3
	scratch_store_b32 off, v3, off offset:844 ; 4-byte Folded Spill
	ds_store_b128 v3, v[83:86]
	ds_store_b128 v3, v[87:90] offset:48
	ds_store_b128 v3, v[91:94] offset:96
	v_mad_u16 v3, v17, 9, v18
	s_delay_alu instid0(VALU_DEP_1) | instskip(NEXT) | instid1(VALU_DEP_1)
	v_and_b32_e32 v3, 0xffff, v3
	v_lshlrev_b32_e32 v3, 4, v3
	v_fma_f64 v[139:140], v[143:144], s[8:9], v[147:148]
	v_fma_f64 v[143:144], v[143:144], s[2:3], v[147:148]
	scratch_store_b32 off, v3, off offset:840 ; 4-byte Folded Spill
	ds_store_b128 v3, v[95:98]
	ds_store_b128 v3, v[99:102] offset:48
	ds_store_b128 v3, v[103:106] offset:96
	v_mad_u16 v3, v19, 9, v20
	s_delay_alu instid0(VALU_DEP_1) | instskip(NEXT) | instid1(VALU_DEP_1)
	v_and_b32_e32 v3, 0xffff, v3
	v_lshlrev_b32_e32 v3, 4, v3
	scratch_store_b32 off, v3, off offset:828 ; 4-byte Folded Spill
	ds_store_b128 v3, v[107:110]
	ds_store_b128 v3, v[111:114] offset:48
	ds_store_b128 v3, v[115:118] offset:96
	v_mad_u16 v3, v21, 9, v22
	s_delay_alu instid0(VALU_DEP_1) | instskip(NEXT) | instid1(VALU_DEP_1)
	v_and_b32_e32 v3, 0xffff, v3
	v_lshlrev_b32_e32 v3, 4, v3
	scratch_store_b32 off, v3, off offset:788 ; 4-byte Folded Spill
	ds_store_b128 v3, v[119:122]
	ds_store_b128 v3, v[123:126] offset:48
	ds_store_b128 v3, v[129:132] offset:96
	v_lshrrev_b16 v129, 9, v0
	scratch_store_b32 off, v1, off offset:1144 ; 4-byte Folded Spill
	ds_store_b128 v1, v[133:136]
	ds_store_b128 v1, v[137:140] offset:48
	ds_store_b128 v1, v[141:144] offset:96
	s_waitcnt lgkmcnt(0)
	s_waitcnt_vscnt null, 0x0
	s_barrier
	v_mul_lo_u16 v0, v129, 9
	buffer_gl0_inv
	v_sub_nc_u16 v0, v152, v0
	s_delay_alu instid0(VALU_DEP_1)
	v_and_b32_e32 v165, 0xff, v0
	ds_load_b128 v[0:3], v8 offset:5184
	v_mad_u64_u32 v[4:5], null, 0x90, v165, s[10:11]
	global_load_b128 v[9:12], v[4:5], off offset:96
	s_waitcnt vmcnt(0) lgkmcnt(0)
	v_mul_f64 v[6:7], v[2:3], v[11:12]
	scratch_store_b128 off, v[9:12], off offset:852 ; 16-byte Folded Spill
	v_fma_f64 v[16:17], v[0:1], v[9:10], -v[6:7]
	v_mul_f64 v[0:1], v[0:1], v[11:12]
	s_delay_alu instid0(VALU_DEP_1)
	v_fma_f64 v[18:19], v[2:3], v[9:10], v[0:1]
	global_load_b128 v[9:12], v[4:5], off offset:112
	ds_load_b128 v[0:3], v8 offset:10368
	s_waitcnt vmcnt(0) lgkmcnt(0)
	v_mul_f64 v[6:7], v[2:3], v[11:12]
	scratch_store_b128 off, v[9:12], off offset:868 ; 16-byte Folded Spill
	v_fma_f64 v[20:21], v[0:1], v[9:10], -v[6:7]
	v_mul_f64 v[0:1], v[0:1], v[11:12]
	s_delay_alu instid0(VALU_DEP_1)
	v_fma_f64 v[22:23], v[2:3], v[9:10], v[0:1]
	global_load_b128 v[9:12], v[4:5], off offset:128
	ds_load_b128 v[0:3], v8 offset:15552
	;; [unrolled: 9-line block ×5, first 2 shown]
	s_waitcnt vmcnt(0) lgkmcnt(0)
	v_mul_f64 v[6:7], v[2:3], v[11:12]
	scratch_store_b128 off, v[9:12], off offset:964 ; 16-byte Folded Spill
	v_fma_f64 v[52:53], v[0:1], v[9:10], -v[6:7]
	v_mul_f64 v[0:1], v[0:1], v[11:12]
	s_delay_alu instid0(VALU_DEP_2) | instskip(NEXT) | instid1(VALU_DEP_2)
	v_add_f64 v[201:202], v[28:29], -v[52:53]
	v_fma_f64 v[54:55], v[2:3], v[9:10], v[0:1]
	global_load_b128 v[9:12], v[4:5], off offset:192
	ds_load_b128 v[0:3], v8 offset:36288
	v_add_f64 v[197:198], v[30:31], -v[54:55]
	s_waitcnt vmcnt(0) lgkmcnt(0)
	v_mul_f64 v[6:7], v[2:3], v[11:12]
	scratch_store_b128 off, v[9:12], off offset:980 ; 16-byte Folded Spill
	v_fma_f64 v[58:59], v[0:1], v[9:10], -v[6:7]
	v_mul_f64 v[0:1], v[0:1], v[11:12]
	s_delay_alu instid0(VALU_DEP_2) | instskip(NEXT) | instid1(VALU_DEP_2)
	v_add_f64 v[189:190], v[48:49], -v[58:59]
	v_fma_f64 v[56:57], v[2:3], v[9:10], v[0:1]
	global_load_b128 v[9:12], v[4:5], off offset:208
	ds_load_b128 v[0:3], v8 offset:41472
	v_add_f64 v[193:194], v[46:47], -v[56:57]
	s_waitcnt vmcnt(0) lgkmcnt(0)
	v_mul_f64 v[6:7], v[2:3], v[11:12]
	scratch_store_b128 off, v[9:12], off offset:996 ; 16-byte Folded Spill
	v_fma_f64 v[72:73], v[0:1], v[9:10], -v[6:7]
	v_mul_f64 v[0:1], v[0:1], v[11:12]
	s_delay_alu instid0(VALU_DEP_2) | instskip(NEXT) | instid1(VALU_DEP_2)
	v_add_f64 v[199:200], v[20:21], -v[72:73]
	v_fma_f64 v[74:75], v[2:3], v[9:10], v[0:1]
	global_load_b128 v[9:12], v[4:5], off offset:224
	ds_load_b128 v[0:3], v8 offset:46656
	v_add_f64 v[195:196], v[22:23], -v[74:75]
	s_waitcnt vmcnt(0) lgkmcnt(0)
	v_mul_f64 v[4:5], v[2:3], v[11:12]
	scratch_store_b128 off, v[9:12], off offset:1016 ; 16-byte Folded Spill
	v_fma_f64 v[94:95], v[0:1], v[9:10], -v[4:5]
	v_mul_f64 v[0:1], v[0:1], v[11:12]
	s_delay_alu instid0(VALU_DEP_2) | instskip(NEXT) | instid1(VALU_DEP_2)
	v_add_f64 v[187:188], v[26:27], -v[94:95]
	v_fma_f64 v[92:93], v[2:3], v[9:10], v[0:1]
	v_mul_lo_u16 v0, v160, 57
	s_delay_alu instid0(VALU_DEP_1) | instskip(NEXT) | instid1(VALU_DEP_1)
	v_lshrrev_b16 v161, 9, v0
	v_mul_lo_u16 v0, v161, 9
	s_delay_alu instid0(VALU_DEP_1) | instskip(NEXT) | instid1(VALU_DEP_1)
	v_sub_nc_u16 v0, v156, v0
	v_and_b32_e32 v162, 0xff, v0
	ds_load_b128 v[0:3], v8 offset:6912
	v_mad_u64_u32 v[4:5], null, 0x90, v162, s[10:11]
	s_clause 0x2
	global_load_b128 v[9:12], v[4:5], off offset:96
	global_load_b128 v[248:251], v[4:5], off offset:208
	;; [unrolled: 1-line block ×3, first 2 shown]
	v_add_f64 v[191:192], v[24:25], -v[92:93]
	s_waitcnt vmcnt(2) lgkmcnt(0)
	v_mul_f64 v[6:7], v[2:3], v[11:12]
	scratch_store_b128 off, v[9:12], off offset:1032 ; 16-byte Folded Spill
	v_fma_f64 v[32:33], v[0:1], v[9:10], -v[6:7]
	v_mul_f64 v[0:1], v[0:1], v[11:12]
	s_delay_alu instid0(VALU_DEP_1)
	v_fma_f64 v[34:35], v[2:3], v[9:10], v[0:1]
	global_load_b128 v[9:12], v[4:5], off offset:112
	ds_load_b128 v[0:3], v8 offset:12096
	s_waitcnt vmcnt(0) lgkmcnt(0)
	v_mul_f64 v[6:7], v[2:3], v[11:12]
	scratch_store_b128 off, v[9:12], off offset:1048 ; 16-byte Folded Spill
	v_fma_f64 v[36:37], v[0:1], v[9:10], -v[6:7]
	v_mul_f64 v[0:1], v[0:1], v[11:12]
	s_delay_alu instid0(VALU_DEP_1)
	v_fma_f64 v[38:39], v[2:3], v[9:10], v[0:1]
	global_load_b128 v[9:12], v[4:5], off offset:128
	ds_load_b128 v[0:3], v8 offset:17280
	;; [unrolled: 9-line block ×6, first 2 shown]
	s_waitcnt vmcnt(0) lgkmcnt(0)
	v_mul_f64 v[6:7], v[2:3], v[11:12]
	scratch_store_b128 off, v[9:12], off offset:1128 ; 16-byte Folded Spill
	v_fma_f64 v[90:91], v[0:1], v[9:10], -v[6:7]
	v_mul_f64 v[0:1], v[0:1], v[11:12]
	s_delay_alu instid0(VALU_DEP_1) | instskip(SKIP_2) | instid1(VALU_DEP_1)
	v_fma_f64 v[88:89], v[2:3], v[9:10], v[0:1]
	ds_load_b128 v[0:3], v8 offset:43200
	v_and_b32_e32 v9, 0xffff, v129
	v_mul_u32_u24_e32 v9, 0x5a, v9
	s_delay_alu instid0(VALU_DEP_1) | instskip(SKIP_2) | instid1(VALU_DEP_1)
	v_add_lshl_u32 v183, v9, v165, 4
	s_waitcnt lgkmcnt(0)
	v_mul_f64 v[6:7], v[2:3], v[250:251]
	v_fma_f64 v[96:97], v[0:1], v[248:249], -v[6:7]
	v_mul_f64 v[0:1], v[0:1], v[250:251]
	s_delay_alu instid0(VALU_DEP_1) | instskip(SKIP_3) | instid1(VALU_DEP_1)
	v_fma_f64 v[98:99], v[2:3], v[248:249], v[0:1]
	ds_load_b128 v[0:3], v8 offset:48384
	s_waitcnt lgkmcnt(0)
	v_mul_f64 v[4:5], v[2:3], v[246:247]
	v_fma_f64 v[106:107], v[0:1], v[244:245], -v[4:5]
	v_mul_f64 v[0:1], v[0:1], v[246:247]
	s_delay_alu instid0(VALU_DEP_1) | instskip(SKIP_1) | instid1(VALU_DEP_1)
	v_fma_f64 v[104:105], v[2:3], v[244:245], v[0:1]
	v_mul_u32_u24_e32 v0, 0xe38f, v159
	v_lshrrev_b32_e32 v163, 19, v0
	s_delay_alu instid0(VALU_DEP_1) | instskip(NEXT) | instid1(VALU_DEP_1)
	v_mul_lo_u16 v0, v163, 9
	v_sub_nc_u16 v164, v155, v0
	s_delay_alu instid0(VALU_DEP_1) | instskip(NEXT) | instid1(VALU_DEP_1)
	v_mul_lo_u16 v0, 0x90, v164
	v_and_b32_e32 v0, 0xffff, v0
	s_delay_alu instid0(VALU_DEP_1) | instskip(NEXT) | instid1(VALU_DEP_1)
	v_add_co_u32 v4, s12, s10, v0
	v_add_co_ci_u32_e64 v5, null, s11, 0, s12
	ds_load_b128 v[0:3], v8 offset:8640
	s_mov_b32 s12, 0x4755a5e
	s_mov_b32 s13, 0x3fe2cf23
	s_clause 0x8
	global_load_b128 v[208:211], v[4:5], off offset:224
	global_load_b128 v[240:243], v[4:5], off offset:96
	;; [unrolled: 1-line block ×9, first 2 shown]
	s_mov_b32 s16, s12
	s_waitcnt vmcnt(7) lgkmcnt(0)
	v_mul_f64 v[6:7], v[2:3], v[242:243]
	s_delay_alu instid0(VALU_DEP_1) | instskip(SKIP_1) | instid1(VALU_DEP_1)
	v_fma_f64 v[44:45], v[0:1], v[240:241], -v[6:7]
	v_mul_f64 v[0:1], v[0:1], v[242:243]
	v_fma_f64 v[50:51], v[2:3], v[240:241], v[0:1]
	ds_load_b128 v[0:3], v8 offset:13824
	s_waitcnt vmcnt(6) lgkmcnt(0)
	v_mul_f64 v[6:7], v[2:3], v[238:239]
	s_delay_alu instid0(VALU_DEP_1) | instskip(SKIP_1) | instid1(VALU_DEP_1)
	v_fma_f64 v[64:65], v[0:1], v[236:237], -v[6:7]
	v_mul_f64 v[0:1], v[0:1], v[238:239]
	v_fma_f64 v[66:67], v[2:3], v[236:237], v[0:1]
	ds_load_b128 v[0:3], v8 offset:19008
	s_waitcnt vmcnt(5) lgkmcnt(0)
	v_mul_f64 v[6:7], v[2:3], v[234:235]
	s_delay_alu instid0(VALU_DEP_1) | instskip(SKIP_1) | instid1(VALU_DEP_2)
	v_fma_f64 v[70:71], v[0:1], v[232:233], -v[6:7]
	v_mul_f64 v[0:1], v[0:1], v[234:235]
	v_add_f64 v[148:149], v[44:45], v[70:71]
	s_delay_alu instid0(VALU_DEP_2) | instskip(SKIP_4) | instid1(VALU_DEP_2)
	v_fma_f64 v[68:69], v[2:3], v[232:233], v[0:1]
	ds_load_b128 v[0:3], v8 offset:24192
	s_waitcnt vmcnt(4) lgkmcnt(0)
	v_mul_f64 v[6:7], v[2:3], v[230:231]
	v_add_f64 v[150:151], v[50:51], v[68:69]
	v_fma_f64 v[76:77], v[0:1], v[228:229], -v[6:7]
	v_mul_f64 v[0:1], v[0:1], v[230:231]
	s_delay_alu instid0(VALU_DEP_1) | instskip(SKIP_3) | instid1(VALU_DEP_1)
	v_fma_f64 v[78:79], v[2:3], v[228:229], v[0:1]
	ds_load_b128 v[0:3], v8 offset:29376
	s_waitcnt vmcnt(3) lgkmcnt(0)
	v_mul_f64 v[6:7], v[2:3], v[226:227]
	v_fma_f64 v[102:103], v[0:1], v[224:225], -v[6:7]
	v_mul_f64 v[0:1], v[0:1], v[226:227]
	s_delay_alu instid0(VALU_DEP_2) | instskip(NEXT) | instid1(VALU_DEP_2)
	v_add_f64 v[148:149], v[148:149], v[102:103]
	v_fma_f64 v[100:101], v[2:3], v[224:225], v[0:1]
	ds_load_b128 v[0:3], v8 offset:34560
	s_waitcnt vmcnt(2) lgkmcnt(0)
	v_mul_f64 v[6:7], v[2:3], v[222:223]
	v_add_f64 v[150:151], v[150:151], v[100:101]
	s_delay_alu instid0(VALU_DEP_2) | instskip(SKIP_1) | instid1(VALU_DEP_2)
	v_fma_f64 v[108:109], v[0:1], v[220:221], -v[6:7]
	v_mul_f64 v[0:1], v[0:1], v[222:223]
	v_add_f64 v[140:141], v[76:77], v[108:109]
	s_delay_alu instid0(VALU_DEP_2) | instskip(SKIP_3) | instid1(VALU_DEP_1)
	v_fma_f64 v[110:111], v[2:3], v[220:221], v[0:1]
	ds_load_b128 v[0:3], v8 offset:39744
	s_waitcnt vmcnt(1) lgkmcnt(0)
	v_mul_f64 v[6:7], v[2:3], v[218:219]
	v_fma_f64 v[114:115], v[0:1], v[216:217], -v[6:7]
	v_mul_f64 v[0:1], v[0:1], v[218:219]
	s_delay_alu instid0(VALU_DEP_2) | instskip(NEXT) | instid1(VALU_DEP_2)
	v_add_f64 v[148:149], v[148:149], v[114:115]
	v_fma_f64 v[112:113], v[2:3], v[216:217], v[0:1]
	ds_load_b128 v[0:3], v8 offset:44928
	s_waitcnt vmcnt(0) lgkmcnt(0)
	v_mul_f64 v[6:7], v[2:3], v[214:215]
	v_add_f64 v[150:151], v[150:151], v[112:113]
	s_delay_alu instid0(VALU_DEP_2) | instskip(SKIP_2) | instid1(VALU_DEP_3)
	v_fma_f64 v[116:117], v[0:1], v[212:213], -v[6:7]
	v_mul_f64 v[0:1], v[0:1], v[214:215]
	v_add_f64 v[6:7], v[18:19], v[24:25]
	v_add_f64 v[142:143], v[64:65], v[116:117]
	s_delay_alu instid0(VALU_DEP_3)
	v_fma_f64 v[118:119], v[2:3], v[212:213], v[0:1]
	ds_load_b128 v[0:3], v8 offset:50112
	v_add_f64 v[6:7], v[6:7], v[46:47]
	s_waitcnt lgkmcnt(0)
	v_mul_f64 v[4:5], v[2:3], v[210:211]
	v_add_f64 v[146:147], v[66:67], v[118:119]
	s_delay_alu instid0(VALU_DEP_3) | instskip(NEXT) | instid1(VALU_DEP_3)
	v_add_f64 v[6:7], v[6:7], v[56:57]
	v_fma_f64 v[122:123], v[0:1], v[208:209], -v[4:5]
	v_mul_f64 v[0:1], v[0:1], v[210:211]
	v_add_f64 v[4:5], v[28:29], v[52:53]
	s_delay_alu instid0(VALU_DEP_4) | instskip(NEXT) | instid1(VALU_DEP_4)
	v_add_f64 v[6:7], v[6:7], v[92:93]
	v_add_f64 v[174:175], v[148:149], v[122:123]
	s_delay_alu instid0(VALU_DEP_4)
	v_fma_f64 v[120:121], v[2:3], v[208:209], v[0:1]
	ds_load_b128 v[0:3], v8
	s_waitcnt lgkmcnt(0)
	v_fma_f64 v[124:125], v[4:5], -0.5, v[0:1]
	v_add_f64 v[4:5], v[20:21], v[72:73]
	v_add_f64 v[176:177], v[150:151], v[120:121]
	s_delay_alu instid0(VALU_DEP_2) | instskip(SKIP_2) | instid1(VALU_DEP_2)
	v_fma_f64 v[10:11], v[4:5], -0.5, v[0:1]
	v_add_f64 v[4:5], v[30:31], v[54:55]
	v_add_f64 v[0:1], v[0:1], v[20:21]
	v_fma_f64 v[126:127], v[4:5], -0.5, v[2:3]
	v_add_f64 v[4:5], v[22:23], v[74:75]
	s_delay_alu instid0(VALU_DEP_3) | instskip(NEXT) | instid1(VALU_DEP_2)
	v_add_f64 v[0:1], v[0:1], v[28:29]
	v_fma_f64 v[130:131], v[4:5], -0.5, v[2:3]
	v_add_f64 v[4:5], v[16:17], v[26:27]
	v_add_f64 v[2:3], v[2:3], v[22:23]
	s_delay_alu instid0(VALU_DEP_4) | instskip(NEXT) | instid1(VALU_DEP_3)
	v_add_f64 v[0:1], v[0:1], v[52:53]
	v_add_f64 v[4:5], v[4:5], v[48:49]
	s_delay_alu instid0(VALU_DEP_3) | instskip(NEXT) | instid1(VALU_DEP_3)
	v_add_f64 v[2:3], v[2:3], v[30:31]
	v_add_f64 v[0:1], v[0:1], v[72:73]
	s_delay_alu instid0(VALU_DEP_3) | instskip(NEXT) | instid1(VALU_DEP_3)
	v_add_f64 v[4:5], v[4:5], v[58:59]
	v_add_f64 v[2:3], v[2:3], v[54:55]
	s_delay_alu instid0(VALU_DEP_2) | instskip(NEXT) | instid1(VALU_DEP_2)
	v_add_f64 v[4:5], v[4:5], v[94:95]
	v_add_f64 v[2:3], v[2:3], v[74:75]
	s_delay_alu instid0(VALU_DEP_2) | instskip(SKIP_2) | instid1(VALU_DEP_4)
	v_add_f64 v[166:167], v[0:1], v[4:5]
	v_add_f64 v[170:171], v[0:1], -v[4:5]
	v_add_f64 v[4:5], v[60:61], v[84:85]
	v_add_f64 v[168:169], v[2:3], v[6:7]
	v_add_f64 v[172:173], v[2:3], -v[6:7]
	ds_load_b128 v[0:3], v8 offset:1728
	v_add_f64 v[6:7], v[34:35], v[40:41]
	s_waitcnt lgkmcnt(0)
	v_fma_f64 v[132:133], v[4:5], -0.5, v[0:1]
	v_add_f64 v[4:5], v[36:37], v[96:97]
	s_delay_alu instid0(VALU_DEP_3) | instskip(NEXT) | instid1(VALU_DEP_2)
	v_add_f64 v[6:7], v[6:7], v[80:81]
	v_fma_f64 v[136:137], v[4:5], -0.5, v[0:1]
	v_add_f64 v[4:5], v[62:63], v[86:87]
	v_add_f64 v[0:1], v[0:1], v[36:37]
	s_delay_alu instid0(VALU_DEP_4) | instskip(NEXT) | instid1(VALU_DEP_3)
	v_add_f64 v[6:7], v[6:7], v[88:89]
	v_fma_f64 v[134:135], v[4:5], -0.5, v[2:3]
	v_add_f64 v[4:5], v[38:39], v[98:99]
	s_delay_alu instid0(VALU_DEP_4) | instskip(NEXT) | instid1(VALU_DEP_4)
	v_add_f64 v[0:1], v[0:1], v[60:61]
	v_add_f64 v[6:7], v[6:7], v[104:105]
	s_delay_alu instid0(VALU_DEP_3) | instskip(SKIP_3) | instid1(VALU_DEP_3)
	v_fma_f64 v[138:139], v[4:5], -0.5, v[2:3]
	v_add_f64 v[2:3], v[2:3], v[38:39]
	v_add_f64 v[4:5], v[32:33], v[42:43]
	;; [unrolled: 1-line block ×4, first 2 shown]
	s_delay_alu instid0(VALU_DEP_3) | instskip(NEXT) | instid1(VALU_DEP_3)
	v_add_f64 v[4:5], v[4:5], v[82:83]
	v_add_f64 v[12:13], v[0:1], v[96:97]
	s_delay_alu instid0(VALU_DEP_3) | instskip(NEXT) | instid1(VALU_DEP_3)
	v_add_f64 v[2:3], v[2:3], v[86:87]
	v_add_f64 v[4:5], v[4:5], v[90:91]
	s_delay_alu instid0(VALU_DEP_2) | instskip(NEXT) | instid1(VALU_DEP_2)
	v_add_f64 v[14:15], v[2:3], v[98:99]
	v_add_f64 v[4:5], v[4:5], v[106:107]
	s_delay_alu instid0(VALU_DEP_2) | instskip(NEXT) | instid1(VALU_DEP_2)
	v_add_f64 v[2:3], v[14:15], v[6:7]
	v_add_f64 v[0:1], v[12:13], v[4:5]
	v_add_f64 v[4:5], v[12:13], -v[4:5]
	v_add_f64 v[6:7], v[14:15], -v[6:7]
	ds_load_b128 v[12:15], v8 offset:3456
	s_waitcnt lgkmcnt(0)
	s_waitcnt_vscnt null, 0x0
	s_barrier
	buffer_gl0_inv
	ds_store_b128 v183, v[166:169]
	ds_store_b128 v183, v[170:173] offset:720
	v_add_f64 v[165:166], v[20:21], -v[28:29]
	v_add_f64 v[167:168], v[72:73], -v[52:53]
	;; [unrolled: 1-line block ×5, first 2 shown]
	v_fma_f64 v[140:141], v[140:141], -0.5, v[12:13]
	v_fma_f64 v[144:145], v[142:143], -0.5, v[12:13]
	v_add_f64 v[142:143], v[78:79], v[110:111]
	v_add_f64 v[12:13], v[12:13], v[64:65]
	v_fma_f64 v[146:147], v[146:147], -0.5, v[14:15]
	v_add_f64 v[28:29], v[20:21], v[28:29]
	s_delay_alu instid0(VALU_DEP_4) | instskip(SKIP_2) | instid1(VALU_DEP_2)
	v_fma_f64 v[142:143], v[142:143], -0.5, v[14:15]
	v_add_f64 v[14:15], v[14:15], v[66:67]
	v_add_f64 v[12:13], v[12:13], v[76:77]
	;; [unrolled: 1-line block ×3, first 2 shown]
	s_delay_alu instid0(VALU_DEP_2) | instskip(NEXT) | instid1(VALU_DEP_2)
	v_add_f64 v[12:13], v[12:13], v[108:109]
	v_add_f64 v[14:15], v[14:15], v[110:111]
	s_delay_alu instid0(VALU_DEP_2) | instskip(NEXT) | instid1(VALU_DEP_2)
	v_add_f64 v[12:13], v[12:13], v[116:117]
	v_add_f64 v[14:15], v[14:15], v[118:119]
	s_delay_alu instid0(VALU_DEP_2)
	v_add_f64 v[148:149], v[12:13], v[174:175]
	v_add_f64 v[12:13], v[12:13], -v[174:175]
	v_add_f64 v[173:174], v[165:166], v[167:168]
	v_add_f64 v[165:166], v[22:23], -v[30:31]
	v_add_f64 v[167:168], v[74:75], -v[54:55]
	;; [unrolled: 1-line block ×5, first 2 shown]
	v_add_f64 v[150:151], v[14:15], v[176:177]
	v_add_f64 v[14:15], v[14:15], -v[176:177]
	v_add_f64 v[175:176], v[165:166], v[167:168]
	v_add_f64 v[165:166], v[26:27], -v[48:49]
	v_add_f64 v[167:168], v[94:95], -v[58:59]
	v_add_f64 v[30:31], v[22:23], v[30:31]
	s_delay_alu instid0(VALU_DEP_2) | instskip(SKIP_2) | instid1(VALU_DEP_1)
	v_add_f64 v[177:178], v[165:166], v[167:168]
	v_add_f64 v[165:166], v[24:25], -v[46:47]
	v_add_f64 v[167:168], v[92:93], -v[56:57]
	v_add_f64 v[179:180], v[165:166], v[167:168]
	v_add_f64 v[165:166], v[48:49], v[58:59]
	v_add_f64 v[48:49], v[48:49], -v[26:27]
	v_add_f64 v[26:27], v[26:27], v[94:95]
	v_add_f64 v[58:59], v[98:99], -v[86:87]
	s_delay_alu instid0(VALU_DEP_4)
	v_fma_f64 v[181:182], v[165:166], -0.5, v[16:17]
	v_add_f64 v[165:166], v[46:47], v[56:57]
	v_add_f64 v[46:47], v[46:47], -v[24:25]
	v_add_f64 v[24:25], v[24:25], v[92:93]
	v_fma_f64 v[26:27], v[26:27], -0.5, v[16:17]
	v_add_f64 v[48:49], v[48:49], v[52:53]
	v_fma_f64 v[167:168], v[191:192], s[18:19], v[181:182]
	v_fma_f64 v[184:185], v[165:166], -0.5, v[18:19]
	v_add_f64 v[46:47], v[46:47], v[54:55]
	v_fma_f64 v[24:25], v[24:25], -0.5, v[18:19]
	v_fma_f64 v[18:19], v[193:194], s[20:21], v[26:27]
	v_fma_f64 v[26:27], v[193:194], s[18:19], v[26:27]
	;; [unrolled: 1-line block ×17, first 2 shown]
	s_delay_alu instid0(VALU_DEP_4) | instskip(NEXT) | instid1(VALU_DEP_4)
	v_fma_f64 v[24:25], v[46:47], s[14:15], v[24:25]
	v_fma_f64 v[48:49], v[201:202], s[12:13], v[48:49]
	s_delay_alu instid0(VALU_DEP_4) | instskip(NEXT) | instid1(VALU_DEP_4)
	v_mul_f64 v[169:170], v[165:166], s[12:13]
	v_mul_f64 v[20:21], v[16:17], s[18:19]
	s_delay_alu instid0(VALU_DEP_3) | instskip(NEXT) | instid1(VALU_DEP_3)
	v_fma_f64 v[56:57], v[175:176], s[14:15], v[48:49]
	v_fma_f64 v[169:170], v[167:168], s[22:23], v[169:170]
	v_mul_f64 v[167:168], v[167:168], s[16:17]
	s_delay_alu instid0(VALU_DEP_4) | instskip(SKIP_1) | instid1(VALU_DEP_3)
	v_fma_f64 v[20:21], v[18:19], s[14:15], v[20:21]
	v_mul_f64 v[18:19], v[18:19], s[20:21]
	v_fma_f64 v[171:172], v[165:166], s[22:23], v[167:168]
	v_fma_f64 v[165:166], v[195:196], s[18:19], v[124:125]
	s_delay_alu instid0(VALU_DEP_3)
	v_fma_f64 v[22:23], v[16:17], s[14:15], v[18:19]
	v_fma_f64 v[16:17], v[197:198], s[20:21], v[10:11]
	;; [unrolled: 1-line block ×16, first 2 shown]
	v_add_f64 v[175:176], v[82:83], -v[90:91]
	v_add_f64 v[165:166], v[203:204], v[169:170]
	v_add_f64 v[169:170], v[203:204], -v[169:170]
	v_add_f64 v[16:17], v[52:53], v[20:21]
	v_add_f64 v[20:21], v[52:53], -v[20:21]
	v_fma_f64 v[28:29], v[199:200], s[12:13], v[28:29]
	v_fma_f64 v[52:53], v[187:188], s[18:19], v[184:185]
	v_add_f64 v[18:19], v[54:55], v[22:23]
	v_add_f64 v[22:23], v[54:55], -v[22:23]
	v_add_f64 v[184:185], v[62:63], -v[86:87]
	;; [unrolled: 1-line block ×3, first 2 shown]
	v_add_f64 v[167:168], v[205:206], v[171:172]
	v_add_f64 v[171:172], v[205:206], -v[171:172]
	v_fma_f64 v[30:31], v[30:31], s[14:15], v[28:29]
	v_mul_f64 v[28:29], v[26:27], s[24:25]
	v_fma_f64 v[52:53], v[189:190], s[12:13], v[52:53]
	v_add_f64 v[189:190], v[60:61], -v[84:85]
	s_delay_alu instid0(VALU_DEP_3) | instskip(SKIP_1) | instid1(VALU_DEP_1)
	v_fma_f64 v[28:29], v[24:25], s[18:19], v[28:29]
	v_mul_f64 v[24:25], v[24:25], s[24:25]
	v_fma_f64 v[46:47], v[26:27], s[20:21], v[24:25]
	s_delay_alu instid0(VALU_DEP_3)
	v_add_f64 v[24:25], v[9:10], v[28:29]
	v_add_f64 v[28:29], v[9:10], -v[28:29]
	v_fma_f64 v[9:10], v[191:192], s[20:21], v[181:182]
	v_add_f64 v[181:182], v[38:39], -v[98:99]
	v_add_f64 v[26:27], v[30:31], v[46:47]
	v_add_f64 v[30:31], v[30:31], -v[46:47]
	v_fma_f64 v[46:47], v[195:196], s[20:21], v[124:125]
	v_fma_f64 v[9:10], v[193:194], s[16:17], v[9:10]
	s_delay_alu instid0(VALU_DEP_2) | instskip(NEXT) | instid1(VALU_DEP_2)
	v_fma_f64 v[46:47], v[197:198], s[16:17], v[46:47]
	v_fma_f64 v[9:10], v[177:178], s[14:15], v[9:10]
	v_add_f64 v[177:178], v[40:41], -v[104:105]
	s_delay_alu instid0(VALU_DEP_3) | instskip(SKIP_1) | instid1(VALU_DEP_4)
	v_fma_f64 v[54:55], v[173:174], s[14:15], v[46:47]
	v_fma_f64 v[46:47], v[179:180], s[14:15], v[52:53]
	v_mul_f64 v[48:49], v[9:10], s[26:27]
	v_add_f64 v[179:180], v[80:81], -v[88:89]
	v_add_f64 v[173:174], v[42:43], -v[106:107]
	s_delay_alu instid0(VALU_DEP_3) | instskip(SKIP_1) | instid1(VALU_DEP_1)
	v_fma_f64 v[52:53], v[46:47], s[12:13], v[48:49]
	v_mul_f64 v[46:47], v[46:47], s[26:27]
	v_fma_f64 v[9:10], v[9:10], s[16:17], v[46:47]
	s_delay_alu instid0(VALU_DEP_3) | instskip(SKIP_1) | instid1(VALU_DEP_3)
	v_add_f64 v[46:47], v[54:55], v[52:53]
	v_add_f64 v[52:53], v[54:55], -v[52:53]
	v_add_f64 v[48:49], v[56:57], v[9:10]
	v_add_f64 v[54:55], v[56:57], -v[9:10]
	v_add_f64 v[9:10], v[36:37], -v[60:61]
	;; [unrolled: 1-line block ×6, first 2 shown]
	ds_store_b128 v183, v[165:168] offset:144
	ds_store_b128 v183, v[16:19] offset:288
	;; [unrolled: 1-line block ×8, first 2 shown]
	v_add_f64 v[9:10], v[9:10], v[56:57]
	v_add_f64 v[56:57], v[38:39], -v[62:63]
	v_add_f64 v[38:39], v[62:63], -v[38:39]
	;; [unrolled: 1-line block ×4, first 2 shown]
	v_add_f64 v[60:61], v[36:37], v[60:61]
	v_add_f64 v[92:93], v[56:57], v[58:59]
	v_add_f64 v[56:57], v[42:43], -v[82:83]
	v_add_f64 v[58:59], v[106:107], -v[90:91]
	v_add_f64 v[62:63], v[38:39], v[62:63]
	s_delay_alu instid0(VALU_DEP_2) | instskip(SKIP_2) | instid1(VALU_DEP_1)
	v_add_f64 v[94:95], v[56:57], v[58:59]
	v_add_f64 v[56:57], v[40:41], -v[80:81]
	v_add_f64 v[58:59], v[104:105], -v[88:89]
	v_add_f64 v[124:125], v[56:57], v[58:59]
	v_add_f64 v[56:57], v[82:83], v[90:91]
	v_add_f64 v[82:83], v[82:83], -v[42:43]
	v_add_f64 v[42:43], v[42:43], v[106:107]
	v_add_f64 v[90:91], v[118:119], -v[110:111]
	s_delay_alu instid0(VALU_DEP_4)
	v_fma_f64 v[126:127], v[56:57], -0.5, v[32:33]
	v_add_f64 v[56:57], v[80:81], v[88:89]
	v_add_f64 v[80:81], v[80:81], -v[40:41]
	v_add_f64 v[40:41], v[40:41], v[104:105]
	v_fma_f64 v[42:43], v[42:43], -0.5, v[32:33]
	v_add_f64 v[82:83], v[82:83], v[84:85]
	v_fma_f64 v[58:59], v[177:178], s[18:19], v[126:127]
	v_fma_f64 v[129:130], v[56:57], -0.5, v[34:35]
	v_add_f64 v[80:81], v[80:81], v[86:87]
	v_fma_f64 v[40:41], v[40:41], -0.5, v[34:35]
	v_fma_f64 v[34:35], v[179:180], s[20:21], v[42:43]
	v_fma_f64 v[42:43], v[179:180], s[18:19], v[42:43]
	;; [unrolled: 1-line block ×16, first 2 shown]
	s_delay_alu instid0(VALU_DEP_3) | instskip(SKIP_1) | instid1(VALU_DEP_4)
	v_fma_f64 v[40:41], v[80:81], s[14:15], v[40:41]
	v_mul_f64 v[80:81], v[42:43], s[24:25]
	v_mul_f64 v[72:73], v[56:57], s[12:13]
	s_delay_alu instid0(VALU_DEP_4) | instskip(NEXT) | instid1(VALU_DEP_3)
	v_mul_f64 v[36:37], v[32:33], s[18:19]
	v_fma_f64 v[80:81], v[40:41], s[18:19], v[80:81]
	v_mul_f64 v[40:41], v[40:41], s[24:25]
	s_delay_alu instid0(VALU_DEP_4) | instskip(SKIP_4) | instid1(VALU_DEP_4)
	v_fma_f64 v[72:73], v[58:59], s[22:23], v[72:73]
	v_mul_f64 v[58:59], v[58:59], s[16:17]
	v_fma_f64 v[36:37], v[34:35], s[14:15], v[36:37]
	v_mul_f64 v[34:35], v[34:35], s[20:21]
	v_fma_f64 v[82:83], v[42:43], s[20:21], v[40:41]
	v_fma_f64 v[74:75], v[56:57], s[22:23], v[58:59]
	;; [unrolled: 1-line block ×3, first 2 shown]
	s_delay_alu instid0(VALU_DEP_4) | instskip(SKIP_4) | instid1(VALU_DEP_4)
	v_fma_f64 v[38:39], v[32:33], s[14:15], v[34:35]
	v_fma_f64 v[32:33], v[184:185], s[20:21], v[136:137]
	;; [unrolled: 1-line block ×6, first 2 shown]
	s_delay_alu instid0(VALU_DEP_4) | instskip(NEXT) | instid1(VALU_DEP_4)
	v_fma_f64 v[34:35], v[187:188], s[16:17], v[34:35]
	v_fma_f64 v[58:59], v[189:190], s[16:17], v[58:59]
	s_delay_alu instid0(VALU_DEP_4) | instskip(NEXT) | instid1(VALU_DEP_4)
	v_fma_f64 v[191:192], v[9:10], s[14:15], v[56:57]
	v_fma_f64 v[84:85], v[60:61], s[14:15], v[32:33]
	;; [unrolled: 3-line block ×3, first 2 shown]
	s_delay_alu instid0(VALU_DEP_4)
	v_add_f64 v[56:57], v[191:192], v[72:73]
	v_add_f64 v[72:73], v[191:192], -v[72:73]
	v_add_f64 v[32:33], v[84:85], v[36:37]
	v_add_f64 v[36:37], v[84:85], -v[36:37]
	v_fma_f64 v[84:85], v[184:185], s[18:19], v[136:137]
	v_add_f64 v[34:35], v[86:87], v[38:39]
	v_add_f64 v[38:39], v[86:87], -v[38:39]
	v_fma_f64 v[86:87], v[173:174], s[18:19], v[129:130]
	v_add_f64 v[173:174], v[66:67], -v[118:119]
	v_add_f64 v[58:59], v[193:194], v[74:75]
	v_add_f64 v[74:75], v[193:194], -v[74:75]
	v_fma_f64 v[84:85], v[181:182], s[16:17], v[84:85]
	v_fma_f64 v[86:87], v[175:176], s[12:13], v[86:87]
	v_add_f64 v[175:176], v[78:79], -v[110:111]
	s_delay_alu instid0(VALU_DEP_3) | instskip(SKIP_2) | instid1(VALU_DEP_3)
	v_fma_f64 v[60:61], v[60:61], s[14:15], v[84:85]
	v_fma_f64 v[84:85], v[189:190], s[20:21], v[138:139]
	v_add_f64 v[137:138], v[100:101], -v[112:113]
	v_add_f64 v[40:41], v[60:61], v[80:81]
	s_delay_alu instid0(VALU_DEP_3) | instskip(SKIP_3) | instid1(VALU_DEP_4)
	v_fma_f64 v[84:85], v[187:188], s[12:13], v[84:85]
	v_add_f64 v[60:61], v[60:61], -v[80:81]
	v_fma_f64 v[80:81], v[177:178], s[20:21], v[126:127]
	v_add_f64 v[177:178], v[64:65], -v[116:117]
	v_fma_f64 v[62:63], v[62:63], s[14:15], v[84:85]
	v_fma_f64 v[84:85], v[187:188], s[18:19], v[134:135]
	s_delay_alu instid0(VALU_DEP_4)
	v_fma_f64 v[80:81], v[179:180], s[16:17], v[80:81]
	v_add_f64 v[135:136], v[68:69], -v[120:121]
	v_add_f64 v[179:180], v[76:77], -v[108:109]
	v_add_f64 v[42:43], v[62:63], v[82:83]
	v_add_f64 v[62:63], v[62:63], -v[82:83]
	v_fma_f64 v[82:83], v[181:182], s[20:21], v[132:133]
	v_fma_f64 v[84:85], v[189:190], s[12:13], v[84:85]
	;; [unrolled: 1-line block ×3, first 2 shown]
	v_add_f64 v[131:132], v[70:71], -v[122:123]
	v_add_f64 v[133:134], v[102:103], -v[114:115]
	v_fma_f64 v[82:83], v[184:185], s[16:17], v[82:83]
	v_fma_f64 v[88:89], v[92:93], s[14:15], v[84:85]
	v_mul_f64 v[84:85], v[80:81], s[26:27]
	s_delay_alu instid0(VALU_DEP_3) | instskip(SKIP_1) | instid1(VALU_DEP_1)
	v_fma_f64 v[9:10], v[9:10], s[14:15], v[82:83]
	v_fma_f64 v[82:83], v[124:125], s[14:15], v[86:87]
	;; [unrolled: 1-line block ×3, first 2 shown]
	v_mul_f64 v[82:83], v[82:83], s[26:27]
	s_delay_alu instid0(VALU_DEP_1) | instskip(NEXT) | instid1(VALU_DEP_3)
	v_fma_f64 v[86:87], v[80:81], s[16:17], v[82:83]
	v_add_f64 v[80:81], v[9:10], v[84:85]
	v_add_f64 v[84:85], v[9:10], -v[84:85]
	v_add_f64 v[9:10], v[64:65], -v[76:77]
	;; [unrolled: 1-line block ×4, first 2 shown]
	v_add_f64 v[82:83], v[88:89], v[86:87]
	v_add_f64 v[86:87], v[88:89], -v[86:87]
	v_add_f64 v[88:89], v[116:117], -v[108:109]
	s_delay_alu instid0(VALU_DEP_4) | instskip(NEXT) | instid1(VALU_DEP_2)
	v_add_f64 v[76:77], v[64:65], v[76:77]
	v_add_f64 v[9:10], v[9:10], v[88:89]
	v_add_f64 v[88:89], v[66:67], -v[78:79]
	v_add_f64 v[66:67], v[78:79], -v[66:67]
	v_add_f64 v[78:79], v[110:111], -v[118:119]
	s_delay_alu instid0(VALU_DEP_3) | instskip(SKIP_2) | instid1(VALU_DEP_4)
	v_add_f64 v[104:105], v[88:89], v[90:91]
	v_add_f64 v[88:89], v[70:71], -v[102:103]
	v_add_f64 v[90:91], v[122:123], -v[114:115]
	v_add_f64 v[78:79], v[66:67], v[78:79]
	s_delay_alu instid0(VALU_DEP_2) | instskip(SKIP_2) | instid1(VALU_DEP_1)
	v_add_f64 v[106:107], v[88:89], v[90:91]
	v_add_f64 v[88:89], v[68:69], -v[100:101]
	v_add_f64 v[90:91], v[120:121], -v[112:113]
	v_add_f64 v[124:125], v[88:89], v[90:91]
	v_add_f64 v[88:89], v[102:103], v[114:115]
	s_delay_alu instid0(VALU_DEP_1) | instskip(SKIP_3) | instid1(VALU_DEP_4)
	v_fma_f64 v[126:127], v[88:89], -0.5, v[44:45]
	v_add_f64 v[88:89], v[100:101], v[112:113]
	v_add_f64 v[100:101], v[100:101], -v[68:69]
	v_add_f64 v[68:69], v[68:69], v[120:121]
	v_fma_f64 v[90:91], v[135:136], s[18:19], v[126:127]
	s_delay_alu instid0(VALU_DEP_4) | instskip(NEXT) | instid1(VALU_DEP_3)
	v_fma_f64 v[129:130], v[88:89], -0.5, v[50:51]
	v_fma_f64 v[50:51], v[68:69], -0.5, v[50:51]
	s_delay_alu instid0(VALU_DEP_3) | instskip(NEXT) | instid1(VALU_DEP_3)
	v_fma_f64 v[90:91], v[137:138], s[12:13], v[90:91]
	v_fma_f64 v[88:89], v[131:132], s[20:21], v[129:130]
	s_delay_alu instid0(VALU_DEP_3) | instskip(SKIP_1) | instid1(VALU_DEP_4)
	v_fma_f64 v[64:65], v[133:134], s[18:19], v[50:51]
	v_fma_f64 v[50:51], v[133:134], s[20:21], v[50:51]
	;; [unrolled: 1-line block ×3, first 2 shown]
	s_delay_alu instid0(VALU_DEP_4) | instskip(NEXT) | instid1(VALU_DEP_4)
	v_fma_f64 v[88:89], v[133:134], s[16:17], v[88:89]
	v_fma_f64 v[64:65], v[131:132], s[16:17], v[64:65]
	s_delay_alu instid0(VALU_DEP_4) | instskip(NEXT) | instid1(VALU_DEP_3)
	v_fma_f64 v[50:51], v[131:132], s[12:13], v[50:51]
	v_fma_f64 v[88:89], v[124:125], s[14:15], v[88:89]
	s_delay_alu instid0(VALU_DEP_1) | instskip(NEXT) | instid1(VALU_DEP_1)
	v_mul_f64 v[92:93], v[88:89], s[12:13]
	v_fma_f64 v[92:93], v[90:91], s[22:23], v[92:93]
	v_mul_f64 v[90:91], v[90:91], s[16:17]
	s_delay_alu instid0(VALU_DEP_1) | instskip(SKIP_2) | instid1(VALU_DEP_2)
	v_fma_f64 v[94:95], v[88:89], s[22:23], v[90:91]
	v_fma_f64 v[88:89], v[173:174], s[18:19], v[140:141]
	;; [unrolled: 1-line block ×4, first 2 shown]
	s_delay_alu instid0(VALU_DEP_2) | instskip(NEXT) | instid1(VALU_DEP_2)
	v_fma_f64 v[90:91], v[179:180], s[16:17], v[90:91]
	v_fma_f64 v[96:97], v[9:10], s[14:15], v[88:89]
	s_delay_alu instid0(VALU_DEP_2) | instskip(NEXT) | instid1(VALU_DEP_2)
	v_fma_f64 v[98:99], v[104:105], s[14:15], v[90:91]
	v_add_f64 v[88:89], v[96:97], v[92:93]
	v_add_f64 v[92:93], v[96:97], -v[92:93]
	v_add_f64 v[96:97], v[102:103], -v[70:71]
	v_add_f64 v[70:71], v[70:71], v[122:123]
	v_add_f64 v[90:91], v[98:99], v[94:95]
	v_add_f64 v[94:95], v[98:99], -v[94:95]
	v_add_f64 v[98:99], v[114:115], -v[122:123]
	;; [unrolled: 1-line block ×3, first 2 shown]
	v_fma_f64 v[44:45], v[70:71], -0.5, v[44:45]
	s_delay_alu instid0(VALU_DEP_3) | instskip(NEXT) | instid1(VALU_DEP_3)
	v_add_f64 v[96:97], v[96:97], v[98:99]
	v_add_f64 v[98:99], v[100:101], v[102:103]
	s_delay_alu instid0(VALU_DEP_3) | instskip(SKIP_1) | instid1(VALU_DEP_3)
	v_fma_f64 v[66:67], v[137:138], s[20:21], v[44:45]
	v_fma_f64 v[44:45], v[137:138], s[18:19], v[44:45]
	;; [unrolled: 1-line block ×4, first 2 shown]
	s_delay_alu instid0(VALU_DEP_4) | instskip(NEXT) | instid1(VALU_DEP_4)
	v_fma_f64 v[66:67], v[135:136], s[12:13], v[66:67]
	v_fma_f64 v[44:45], v[135:136], s[16:17], v[44:45]
	s_delay_alu instid0(VALU_DEP_4) | instskip(NEXT) | instid1(VALU_DEP_3)
	v_mul_f64 v[68:69], v[64:65], s[18:19]
	v_fma_f64 v[66:67], v[96:97], s[14:15], v[66:67]
	s_delay_alu instid0(VALU_DEP_3) | instskip(NEXT) | instid1(VALU_DEP_2)
	v_fma_f64 v[44:45], v[96:97], s[14:15], v[44:45]
	v_fma_f64 v[68:69], v[66:67], s[14:15], v[68:69]
	v_mul_f64 v[66:67], v[66:67], s[20:21]
	s_delay_alu instid0(VALU_DEP_1) | instskip(SKIP_2) | instid1(VALU_DEP_2)
	v_fma_f64 v[70:71], v[64:65], s[14:15], v[66:67]
	v_fma_f64 v[64:65], v[175:176], s[20:21], v[144:145]
	;; [unrolled: 1-line block ×4, first 2 shown]
	s_delay_alu instid0(VALU_DEP_2) | instskip(NEXT) | instid1(VALU_DEP_2)
	v_fma_f64 v[66:67], v[177:178], s[16:17], v[66:67]
	v_fma_f64 v[100:101], v[76:77], s[14:15], v[64:65]
	s_delay_alu instid0(VALU_DEP_2) | instskip(NEXT) | instid1(VALU_DEP_2)
	v_fma_f64 v[102:103], v[78:79], s[14:15], v[66:67]
	v_add_f64 v[64:65], v[100:101], v[68:69]
	v_add_f64 v[68:69], v[100:101], -v[68:69]
	v_fma_f64 v[100:101], v[175:176], s[18:19], v[144:145]
	s_delay_alu instid0(VALU_DEP_4) | instskip(SKIP_1) | instid1(VALU_DEP_3)
	v_add_f64 v[66:67], v[102:103], v[70:71]
	v_add_f64 v[70:71], v[102:103], -v[70:71]
	v_fma_f64 v[100:101], v[173:174], s[16:17], v[100:101]
	s_delay_alu instid0(VALU_DEP_1) | instskip(SKIP_1) | instid1(VALU_DEP_1)
	v_fma_f64 v[100:101], v[76:77], s[14:15], v[100:101]
	v_fma_f64 v[76:77], v[179:180], s[20:21], v[146:147]
	;; [unrolled: 1-line block ×3, first 2 shown]
	s_delay_alu instid0(VALU_DEP_1) | instskip(SKIP_1) | instid1(VALU_DEP_1)
	v_fma_f64 v[102:103], v[78:79], s[14:15], v[76:77]
	v_mul_f64 v[76:77], v[44:45], s[24:25]
	v_fma_f64 v[96:97], v[50:51], s[18:19], v[76:77]
	v_mul_f64 v[50:51], v[50:51], s[24:25]
	s_delay_alu instid0(VALU_DEP_2) | instskip(NEXT) | instid1(VALU_DEP_2)
	v_add_f64 v[76:77], v[100:101], v[96:97]
	v_fma_f64 v[44:45], v[44:45], s[20:21], v[50:51]
	v_add_f64 v[96:97], v[100:101], -v[96:97]
	v_fma_f64 v[50:51], v[173:174], s[20:21], v[140:141]
	v_fma_f64 v[100:101], v[177:178], s[18:19], v[142:143]
	s_delay_alu instid0(VALU_DEP_4)
	v_add_f64 v[78:79], v[102:103], v[44:45]
	v_add_f64 v[98:99], v[102:103], -v[44:45]
	v_fma_f64 v[44:45], v[135:136], s[20:21], v[126:127]
	v_fma_f64 v[102:103], v[131:132], s[18:19], v[129:130]
	;; [unrolled: 1-line block ×4, first 2 shown]
	v_mov_b32_e32 v179, v207
	v_fma_f64 v[44:45], v[137:138], s[16:17], v[44:45]
	v_fma_f64 v[102:103], v[133:134], s[12:13], v[102:103]
	;; [unrolled: 1-line block ×4, first 2 shown]
	s_delay_alu instid0(VALU_DEP_4) | instskip(NEXT) | instid1(VALU_DEP_4)
	v_fma_f64 v[44:45], v[106:107], s[14:15], v[44:45]
	v_fma_f64 v[100:101], v[124:125], s[14:15], v[102:103]
	s_delay_alu instid0(VALU_DEP_2) | instskip(NEXT) | instid1(VALU_DEP_1)
	v_mul_f64 v[102:103], v[44:45], s[26:27]
	v_fma_f64 v[104:105], v[100:101], s[12:13], v[102:103]
	v_mul_f64 v[100:101], v[100:101], s[26:27]
	s_delay_alu instid0(VALU_DEP_1) | instskip(NEXT) | instid1(VALU_DEP_3)
	v_fma_f64 v[44:45], v[44:45], s[16:17], v[100:101]
	v_add_f64 v[100:101], v[9:10], v[104:105]
	v_add_f64 v[104:105], v[9:10], -v[104:105]
	v_and_b32_e32 v9, 0xffff, v161
	s_delay_alu instid0(VALU_DEP_1) | instskip(NEXT) | instid1(VALU_DEP_1)
	v_mul_u32_u24_e32 v9, 0x5a, v9
	v_add_lshl_u32 v185, v9, v162, 4
	ds_store_b128 v185, v[0:3]
	ds_store_b128 v185, v[56:59] offset:144
	ds_store_b128 v185, v[32:35] offset:288
	;; [unrolled: 1-line block ×9, first 2 shown]
	v_mad_u16 v0, 0x5a, v163, v164
	s_delay_alu instid0(VALU_DEP_1) | instskip(NEXT) | instid1(VALU_DEP_1)
	v_and_b32_e32 v0, 0xffff, v0
	v_lshlrev_b32_e32 v184, 4, v0
	v_add_nc_u32_e32 v0, 0xffffffa6, v207
	v_add_f64 v[102:103], v[50:51], v[44:45]
	v_add_f64 v[106:107], v[50:51], -v[44:45]
	ds_store_b128 v184, v[148:151]
	ds_store_b128 v184, v[88:91] offset:144
	ds_store_b128 v184, v[64:67] offset:288
	;; [unrolled: 1-line block ×9, first 2 shown]
	v_cndmask_b32_e32 v106, v0, v207, vcc_lo
	scratch_store_b32 off, v179, off offset:488 ; 4-byte Folded Spill
	s_waitcnt lgkmcnt(0)
	s_waitcnt_vscnt null, 0x0
	s_barrier
	buffer_gl0_inv
	v_mul_i32_i24_e32 v0, 0x50, v106
	v_mul_hi_i32_i24_e32 v1, 0x50, v106
	ds_load_b128 v[2:5], v8 offset:8640
	v_add_co_u32 v18, vcc_lo, s10, v0
	v_add_co_ci_u32_e32 v19, vcc_lo, s11, v1, vcc_lo
	v_cmp_lt_u16_e64 vcc_lo, 0x59, v152
	s_clause 0x2
	global_load_b128 v[9:12], v[18:19], off offset:1392
	global_load_b128 v[14:17], v[18:19], off offset:1408
	;; [unrolled: 1-line block ×3, first 2 shown]
	s_waitcnt vmcnt(2) lgkmcnt(0)
	v_mul_f64 v[0:1], v[4:5], v[11:12]
	scratch_store_b128 off, v[9:12], off offset:1180 ; 16-byte Folded Spill
	s_waitcnt vmcnt(1)
	scratch_store_b128 off, v[14:17], off offset:1196 ; 16-byte Folded Spill
	v_fma_f64 v[0:1], v[2:3], v[9:10], -v[0:1]
	v_mul_f64 v[2:3], v[2:3], v[11:12]
	s_delay_alu instid0(VALU_DEP_1) | instskip(SKIP_4) | instid1(VALU_DEP_2)
	v_fma_f64 v[2:3], v[4:5], v[9:10], v[2:3]
	ds_load_b128 v[10:13], v8 offset:17280
	s_waitcnt lgkmcnt(0)
	v_mul_f64 v[4:5], v[12:13], v[16:17]
	v_mul_f64 v[6:7], v[10:11], v[16:17]
	v_fma_f64 v[4:5], v[10:11], v[14:15], -v[4:5]
	s_delay_alu instid0(VALU_DEP_2) | instskip(SKIP_3) | instid1(VALU_DEP_1)
	v_fma_f64 v[6:7], v[12:13], v[14:15], v[6:7]
	ds_load_b128 v[12:15], v8 offset:25920
	s_waitcnt vmcnt(0) lgkmcnt(0)
	v_mul_f64 v[9:10], v[14:15], v[22:23]
	v_fma_f64 v[10:11], v[12:13], v[20:21], -v[9:10]
	v_mul_lo_u16 v9, 0xb7, v160
	s_delay_alu instid0(VALU_DEP_1) | instskip(NEXT) | instid1(VALU_DEP_1)
	v_lshrrev_b16 v94, 14, v9
	v_mul_lo_u16 v9, 0x5a, v94
	s_delay_alu instid0(VALU_DEP_1) | instskip(NEXT) | instid1(VALU_DEP_1)
	v_sub_nc_u16 v9, v156, v9
	v_and_b32_e32 v95, 0xff, v9
	v_mul_u32_u24_e32 v9, 0x2d83, v159
	s_delay_alu instid0(VALU_DEP_2) | instskip(NEXT) | instid1(VALU_DEP_2)
	v_mad_u64_u32 v[38:39], null, 0x50, v95, s[10:11]
	v_lshrrev_b32_e32 v104, 20, v9
	s_delay_alu instid0(VALU_DEP_1)
	v_mul_lo_u16 v9, 0x5a, v104
	global_load_b128 v[26:29], v[38:39], off offset:1392
	v_mul_f64 v[12:13], v[12:13], v[22:23]
	scratch_store_b128 off, v[20:23], off offset:1212 ; 16-byte Folded Spill
	s_clause 0x2
	global_load_b128 v[30:33], v[38:39], off offset:1408
	global_load_b128 v[40:43], v[38:39], off offset:1424
	;; [unrolled: 1-line block ×3, first 2 shown]
	v_sub_nc_u16 v105, v155, v9
	s_delay_alu instid0(VALU_DEP_1) | instskip(NEXT) | instid1(VALU_DEP_1)
	v_mul_lo_u16 v9, 0x50, v105
	v_and_b32_e32 v9, 0xffff, v9
	s_delay_alu instid0(VALU_DEP_1) | instskip(NEXT) | instid1(VALU_DEP_1)
	v_add_co_u32 v58, s28, s10, v9
	v_add_co_ci_u32_e64 v59, null, s11, 0, s28
	v_mul_u32_u24_e32 v9, 0x2d83, v158
	s_clause 0x1
	global_load_b128 v[50:53], v[58:59], off offset:1408
	global_load_b128 v[60:63], v[58:59], off offset:1424
	v_lshrrev_b32_e32 v107, 20, v9
	s_delay_alu instid0(VALU_DEP_1) | instskip(SKIP_4) | instid1(VALU_DEP_1)
	v_mul_lo_u16 v9, 0x5a, v107
	v_fma_f64 v[92:93], v[14:15], v[20:21], v[12:13]
	global_load_b128 v[20:23], v[18:19], off offset:1440
	ds_load_b128 v[14:17], v8 offset:34560
	v_sub_nc_u16 v108, v154, v9
	v_mul_lo_u16 v9, 0x50, v108
	s_delay_alu instid0(VALU_DEP_1) | instskip(NEXT) | instid1(VALU_DEP_1)
	v_and_b32_e32 v9, 0xffff, v9
	v_add_co_u32 v78, s28, s10, v9
	s_delay_alu instid0(VALU_DEP_1)
	v_add_co_ci_u32_e64 v79, null, s11, 0, s28
	v_mul_u32_u24_e32 v9, 0x2d83, v157
	s_clause 0x3
	global_load_b128 v[66:69], v[78:79], off offset:1392
	global_load_b128 v[70:73], v[78:79], off offset:1408
	;; [unrolled: 1-line block ×4, first 2 shown]
	v_lshrrev_b32_e32 v109, 20, v9
	s_delay_alu instid0(VALU_DEP_1) | instskip(NEXT) | instid1(VALU_DEP_1)
	v_mul_lo_u16 v9, 0x5a, v109
	v_sub_nc_u16 v110, v153, v9
	s_delay_alu instid0(VALU_DEP_1) | instskip(NEXT) | instid1(VALU_DEP_1)
	v_mul_lo_u16 v9, 0x50, v110
	v_and_b32_e32 v9, 0xffff, v9
	s_delay_alu instid0(VALU_DEP_1) | instskip(NEXT) | instid1(VALU_DEP_1)
	v_add_co_u32 v102, s28, s10, v9
	v_add_co_ci_u32_e64 v103, null, s11, 0, s28
	v_cndmask_b32_e64 v9, 0, 0x21c, vcc_lo
	s_clause 0x2
	global_load_b128 v[96:99], v[102:103], off offset:1408
	global_load_b128 v[111:114], v[102:103], off offset:1424
	;; [unrolled: 1-line block ×3, first 2 shown]
	v_add_lshl_u32 v106, v106, v9, 4
	s_waitcnt vmcnt(13)
	scratch_store_b128 off, v[26:29], off offset:1260 ; 16-byte Folded Spill
	s_waitcnt vmcnt(12)
	scratch_store_b128 off, v[30:33], off offset:1276 ; 16-byte Folded Spill
	;; [unrolled: 2-line block ×6, first 2 shown]
	s_waitcnt vmcnt(7) lgkmcnt(0)
	v_mul_f64 v[12:13], v[16:17], v[22:23]
	scratch_store_b128 off, v[20:23], off offset:1228 ; 16-byte Folded Spill
	s_waitcnt vmcnt(6)
	scratch_store_b128 off, v[66:69], off offset:1420 ; 16-byte Folded Spill
	s_waitcnt vmcnt(5)
	;; [unrolled: 2-line block ×4, first 2 shown]
	scratch_store_b128 off, v[84:87], off offset:1484 ; 16-byte Folded Spill
	v_fma_f64 v[12:13], v[14:15], v[20:21], -v[12:13]
	v_mul_f64 v[14:15], v[14:15], v[22:23]
	global_load_b128 v[22:25], v[18:19], off offset:1456
	s_waitcnt vmcnt(3)
	scratch_store_b128 off, v[96:99], off offset:1516 ; 16-byte Folded Spill
	s_waitcnt vmcnt(2)
	scratch_store_b128 off, v[111:114], off offset:1532 ; 16-byte Folded Spill
	;; [unrolled: 2-line block ×3, first 2 shown]
	v_fma_f64 v[14:15], v[16:17], v[20:21], v[14:15]
	ds_load_b128 v[16:19], v8 offset:43200
	s_waitcnt vmcnt(0) lgkmcnt(0)
	v_mul_f64 v[20:21], v[18:19], v[24:25]
	scratch_store_b128 off, v[22:25], off offset:1244 ; 16-byte Folded Spill
	v_fma_f64 v[20:21], v[16:17], v[22:23], -v[20:21]
	v_mul_f64 v[16:17], v[16:17], v[24:25]
	s_delay_alu instid0(VALU_DEP_1) | instskip(SKIP_3) | instid1(VALU_DEP_1)
	v_fma_f64 v[18:19], v[18:19], v[22:23], v[16:17]
	ds_load_b128 v[22:25], v8 offset:10368
	s_waitcnt lgkmcnt(0)
	v_mul_f64 v[16:17], v[24:25], v[28:29]
	v_fma_f64 v[16:17], v[22:23], v[26:27], -v[16:17]
	v_mul_f64 v[22:23], v[22:23], v[28:29]
	s_delay_alu instid0(VALU_DEP_1) | instskip(SKIP_3) | instid1(VALU_DEP_1)
	v_fma_f64 v[22:23], v[24:25], v[26:27], v[22:23]
	ds_load_b128 v[26:29], v8 offset:19008
	s_waitcnt lgkmcnt(0)
	v_mul_f64 v[24:25], v[28:29], v[32:33]
	v_fma_f64 v[24:25], v[26:27], v[30:31], -v[24:25]
	v_mul_f64 v[26:27], v[26:27], v[32:33]
	ds_load_b128 v[32:35], v8 offset:27648
	v_fma_f64 v[26:27], v[28:29], v[30:31], v[26:27]
	s_waitcnt lgkmcnt(0)
	v_mul_f64 v[28:29], v[34:35], v[42:43]
	s_delay_alu instid0(VALU_DEP_1) | instskip(SKIP_1) | instid1(VALU_DEP_1)
	v_fma_f64 v[30:31], v[32:33], v[40:41], -v[28:29]
	v_mul_f64 v[28:29], v[32:33], v[42:43]
	v_fma_f64 v[28:29], v[34:35], v[40:41], v[28:29]
	global_load_b128 v[40:43], v[38:39], off offset:1440
	ds_load_b128 v[34:37], v8 offset:36288
	s_waitcnt vmcnt(0) lgkmcnt(0)
	v_mul_f64 v[32:33], v[36:37], v[42:43]
	scratch_store_b128 off, v[40:43], off offset:1308 ; 16-byte Folded Spill
	v_fma_f64 v[32:33], v[34:35], v[40:41], -v[32:33]
	v_mul_f64 v[34:35], v[34:35], v[42:43]
	s_delay_alu instid0(VALU_DEP_2) | instskip(NEXT) | instid1(VALU_DEP_2)
	v_add_f64 v[129:130], v[24:25], v[32:33]
	v_fma_f64 v[34:35], v[36:37], v[40:41], v[34:35]
	ds_load_b128 v[40:43], v8 offset:44928
	s_waitcnt lgkmcnt(0)
	v_mul_f64 v[36:37], v[42:43], v[46:47]
	s_delay_alu instid0(VALU_DEP_1)
	v_fma_f64 v[38:39], v[40:41], v[44:45], -v[36:37]
	v_mul_f64 v[36:37], v[40:41], v[46:47]
	global_load_b128 v[46:49], v[58:59], off offset:1392
	v_fma_f64 v[36:37], v[42:43], v[44:45], v[36:37]
	ds_load_b128 v[42:45], v8 offset:12096
	s_waitcnt vmcnt(0) lgkmcnt(0)
	v_mul_f64 v[40:41], v[44:45], v[48:49]
	scratch_store_b128 off, v[46:49], off offset:1340 ; 16-byte Folded Spill
	v_fma_f64 v[40:41], v[42:43], v[46:47], -v[40:41]
	v_mul_f64 v[42:43], v[42:43], v[48:49]
	s_delay_alu instid0(VALU_DEP_1) | instskip(SKIP_3) | instid1(VALU_DEP_1)
	v_fma_f64 v[42:43], v[44:45], v[46:47], v[42:43]
	ds_load_b128 v[46:49], v8 offset:20736
	s_waitcnt lgkmcnt(0)
	v_mul_f64 v[44:45], v[48:49], v[52:53]
	v_fma_f64 v[44:45], v[46:47], v[50:51], -v[44:45]
	v_mul_f64 v[46:47], v[46:47], v[52:53]
	ds_load_b128 v[52:55], v8 offset:29376
	v_fma_f64 v[46:47], v[48:49], v[50:51], v[46:47]
	s_waitcnt lgkmcnt(0)
	v_mul_f64 v[48:49], v[54:55], v[62:63]
	s_delay_alu instid0(VALU_DEP_1) | instskip(SKIP_1) | instid1(VALU_DEP_1)
	v_fma_f64 v[50:51], v[52:53], v[60:61], -v[48:49]
	v_mul_f64 v[48:49], v[52:53], v[62:63]
	v_fma_f64 v[48:49], v[54:55], v[60:61], v[48:49]
	global_load_b128 v[60:63], v[58:59], off offset:1440
	ds_load_b128 v[54:57], v8 offset:38016
	s_waitcnt vmcnt(0) lgkmcnt(0)
	v_mul_f64 v[52:53], v[56:57], v[62:63]
	scratch_store_b128 off, v[60:63], off offset:1388 ; 16-byte Folded Spill
	v_fma_f64 v[52:53], v[54:55], v[60:61], -v[52:53]
	v_mul_f64 v[54:55], v[54:55], v[62:63]
	global_load_b128 v[62:65], v[58:59], off offset:1456
	v_add_f64 v[138:139], v[44:45], v[52:53]
	v_fma_f64 v[54:55], v[56:57], v[60:61], v[54:55]
	ds_load_b128 v[56:59], v8 offset:46656
	s_waitcnt vmcnt(0) lgkmcnt(0)
	v_mul_f64 v[60:61], v[58:59], v[64:65]
	scratch_store_b128 off, v[62:65], off offset:1404 ; 16-byte Folded Spill
	v_fma_f64 v[60:61], v[56:57], v[62:63], -v[60:61]
	v_mul_f64 v[56:57], v[56:57], v[64:65]
	s_delay_alu instid0(VALU_DEP_1) | instskip(SKIP_3) | instid1(VALU_DEP_1)
	v_fma_f64 v[58:59], v[58:59], v[62:63], v[56:57]
	ds_load_b128 v[62:65], v8 offset:13824
	s_waitcnt lgkmcnt(0)
	v_mul_f64 v[56:57], v[64:65], v[68:69]
	v_fma_f64 v[56:57], v[62:63], v[66:67], -v[56:57]
	v_mul_f64 v[62:63], v[62:63], v[68:69]
	s_delay_alu instid0(VALU_DEP_1) | instskip(SKIP_3) | instid1(VALU_DEP_1)
	v_fma_f64 v[62:63], v[64:65], v[66:67], v[62:63]
	ds_load_b128 v[66:69], v8 offset:22464
	s_waitcnt lgkmcnt(0)
	v_mul_f64 v[64:65], v[68:69], v[72:73]
	v_fma_f64 v[64:65], v[66:67], v[70:71], -v[64:65]
	v_mul_f64 v[66:67], v[66:67], v[72:73]
	ds_load_b128 v[72:75], v8 offset:31104
	v_fma_f64 v[66:67], v[68:69], v[70:71], v[66:67]
	s_waitcnt lgkmcnt(0)
	v_mul_f64 v[68:69], v[74:75], v[82:83]
	s_delay_alu instid0(VALU_DEP_1) | instskip(SKIP_1) | instid1(VALU_DEP_1)
	v_fma_f64 v[70:71], v[72:73], v[80:81], -v[68:69]
	v_mul_f64 v[68:69], v[72:73], v[82:83]
	v_fma_f64 v[68:69], v[74:75], v[80:81], v[68:69]
	global_load_b128 v[80:83], v[78:79], off offset:1440
	ds_load_b128 v[74:77], v8 offset:39744
	s_waitcnt vmcnt(0) lgkmcnt(0)
	v_mul_f64 v[72:73], v[76:77], v[82:83]
	scratch_store_b128 off, v[80:83], off offset:1468 ; 16-byte Folded Spill
	v_fma_f64 v[72:73], v[74:75], v[80:81], -v[72:73]
	v_mul_f64 v[74:75], v[74:75], v[82:83]
	s_delay_alu instid0(VALU_DEP_2) | instskip(NEXT) | instid1(VALU_DEP_2)
	v_add_f64 v[146:147], v[64:65], v[72:73]
	v_fma_f64 v[74:75], v[76:77], v[80:81], v[74:75]
	ds_load_b128 v[80:83], v8 offset:48384
	s_waitcnt lgkmcnt(0)
	v_mul_f64 v[76:77], v[82:83], v[86:87]
	s_delay_alu instid0(VALU_DEP_1)
	v_fma_f64 v[78:79], v[80:81], v[84:85], -v[76:77]
	v_mul_f64 v[76:77], v[80:81], v[86:87]
	global_load_b128 v[86:89], v[102:103], off offset:1392
	v_fma_f64 v[76:77], v[82:83], v[84:85], v[76:77]
	ds_load_b128 v[82:85], v8 offset:15552
	s_waitcnt vmcnt(0) lgkmcnt(0)
	v_mul_f64 v[80:81], v[84:85], v[88:89]
	scratch_store_b128 off, v[86:89], off offset:1500 ; 16-byte Folded Spill
	v_fma_f64 v[80:81], v[82:83], v[86:87], -v[80:81]
	v_mul_f64 v[82:83], v[82:83], v[88:89]
	s_delay_alu instid0(VALU_DEP_1) | instskip(SKIP_3) | instid1(VALU_DEP_1)
	v_fma_f64 v[82:83], v[84:85], v[86:87], v[82:83]
	ds_load_b128 v[86:89], v8 offset:24192
	s_waitcnt lgkmcnt(0)
	v_mul_f64 v[84:85], v[88:89], v[98:99]
	v_fma_f64 v[84:85], v[86:87], v[96:97], -v[84:85]
	v_mul_f64 v[86:87], v[86:87], v[98:99]
	s_delay_alu instid0(VALU_DEP_1) | instskip(SKIP_3) | instid1(VALU_DEP_1)
	v_fma_f64 v[86:87], v[88:89], v[96:97], v[86:87]
	ds_load_b128 v[96:99], v8 offset:32832
	s_waitcnt lgkmcnt(0)
	v_mul_f64 v[88:89], v[98:99], v[113:114]
	v_fma_f64 v[90:91], v[96:97], v[111:112], -v[88:89]
	v_mul_f64 v[88:89], v[96:97], v[113:114]
	s_delay_alu instid0(VALU_DEP_1)
	v_fma_f64 v[88:89], v[98:99], v[111:112], v[88:89]
	global_load_b128 v[111:114], v[102:103], off offset:1440
	ds_load_b128 v[98:101], v8 offset:41472
	s_waitcnt vmcnt(0) lgkmcnt(0)
	v_mul_f64 v[96:97], v[100:101], v[113:114]
	scratch_store_b128 off, v[111:114], off offset:1548 ; 16-byte Folded Spill
	v_fma_f64 v[96:97], v[98:99], v[111:112], -v[96:97]
	v_mul_f64 v[98:99], v[98:99], v[113:114]
	s_delay_alu instid0(VALU_DEP_2) | instskip(NEXT) | instid1(VALU_DEP_2)
	v_add_f64 v[157:158], v[84:85], v[96:97]
	v_fma_f64 v[98:99], v[100:101], v[111:112], v[98:99]
	ds_load_b128 v[111:114], v8 offset:50112
	s_waitcnt lgkmcnt(0)
	v_mul_f64 v[100:101], v[113:114], v[117:118]
	s_delay_alu instid0(VALU_DEP_1) | instskip(SKIP_1) | instid1(VALU_DEP_1)
	v_fma_f64 v[102:103], v[111:112], v[115:116], -v[100:101]
	v_mul_f64 v[100:101], v[111:112], v[117:118]
	v_fma_f64 v[100:101], v[113:114], v[115:116], v[100:101]
	v_add_f64 v[115:116], v[4:5], v[12:13]
	ds_load_b128 v[111:114], v8
	s_waitcnt lgkmcnt(0)
	v_fma_f64 v[119:120], v[115:116], -0.5, v[111:112]
	v_add_f64 v[115:116], v[6:7], v[14:15]
	v_add_f64 v[111:112], v[111:112], v[4:5]
	s_delay_alu instid0(VALU_DEP_2) | instskip(NEXT) | instid1(VALU_DEP_2)
	v_fma_f64 v[121:122], v[115:116], -0.5, v[113:114]
	v_add_f64 v[115:116], v[111:112], v[12:13]
	v_add_f64 v[111:112], v[0:1], v[10:11]
	;; [unrolled: 1-line block ×3, first 2 shown]
	s_delay_alu instid0(VALU_DEP_2) | instskip(SKIP_1) | instid1(VALU_DEP_3)
	v_add_f64 v[123:124], v[111:112], v[20:21]
	v_add_f64 v[111:112], v[2:3], v[92:93]
	v_add_f64 v[117:118], v[113:114], v[14:15]
	v_add_f64 v[14:15], v[6:7], -v[14:15]
	s_delay_alu instid0(VALU_DEP_3) | instskip(SKIP_2) | instid1(VALU_DEP_3)
	v_add_f64 v[125:126], v[111:112], v[18:19]
	v_add_f64 v[111:112], v[115:116], v[123:124]
	v_add_f64 v[115:116], v[115:116], -v[123:124]
	v_add_f64 v[113:114], v[117:118], v[125:126]
	v_add_f64 v[117:118], v[117:118], -v[125:126]
	ds_load_b128 v[124:127], v8 offset:1728
	s_waitcnt lgkmcnt(0)
	v_fma_f64 v[150:151], v[129:130], -0.5, v[124:125]
	v_add_f64 v[129:130], v[26:27], v[34:35]
	v_add_f64 v[123:124], v[124:125], v[24:25]
	s_delay_alu instid0(VALU_DEP_2) | instskip(NEXT) | instid1(VALU_DEP_2)
	v_fma_f64 v[161:162], v[129:130], -0.5, v[126:127]
	v_add_f64 v[129:130], v[123:124], v[32:33]
	v_add_f64 v[123:124], v[16:17], v[30:31]
	;; [unrolled: 1-line block ×3, first 2 shown]
	v_add_f64 v[26:27], v[26:27], -v[34:35]
	v_add_f64 v[32:33], v[24:25], -v[32:33]
	s_delay_alu instid0(VALU_DEP_4) | instskip(SKIP_2) | instid1(VALU_DEP_2)
	v_add_f64 v[134:135], v[123:124], v[38:39]
	v_add_f64 v[123:124], v[22:23], v[28:29]
	;; [unrolled: 1-line block ×4, first 2 shown]
	s_delay_alu instid0(VALU_DEP_4) | instskip(SKIP_1) | instid1(VALU_DEP_3)
	v_add_f64 v[124:125], v[129:130], v[134:135]
	v_add_f64 v[130:131], v[129:130], -v[134:135]
	v_add_f64 v[126:127], v[132:133], v[136:137]
	v_add_f64 v[132:133], v[132:133], -v[136:137]
	ds_load_b128 v[134:137], v8 offset:3456
	s_waitcnt lgkmcnt(0)
	v_fma_f64 v[163:164], v[138:139], -0.5, v[134:135]
	v_add_f64 v[138:139], v[46:47], v[54:55]
	v_add_f64 v[134:135], v[134:135], v[44:45]
	v_add_f64 v[44:45], v[44:45], -v[52:53]
	s_delay_alu instid0(VALU_DEP_3) | instskip(NEXT) | instid1(VALU_DEP_3)
	v_fma_f64 v[165:166], v[138:139], -0.5, v[136:137]
	v_add_f64 v[138:139], v[134:135], v[52:53]
	v_add_f64 v[134:135], v[40:41], v[50:51]
	;; [unrolled: 1-line block ×3, first 2 shown]
	v_add_f64 v[46:47], v[46:47], -v[54:55]
	s_delay_alu instid0(VALU_DEP_3) | instskip(SKIP_1) | instid1(VALU_DEP_4)
	v_add_f64 v[142:143], v[134:135], v[60:61]
	v_add_f64 v[134:135], v[42:43], v[48:49]
	v_add_f64 v[140:141], v[136:137], v[54:55]
	s_delay_alu instid0(VALU_DEP_4) | instskip(SKIP_1) | instid1(VALU_DEP_4)
	v_fma_f64 v[54:55], v[46:47], s[2:3], v[163:164]
	v_fma_f64 v[46:47], v[46:47], s[8:9], v[163:164]
	v_add_f64 v[144:145], v[134:135], v[58:59]
	v_add_f64 v[134:135], v[138:139], v[142:143]
	v_add_f64 v[138:139], v[138:139], -v[142:143]
	s_delay_alu instid0(VALU_DEP_3)
	v_add_f64 v[136:137], v[140:141], v[144:145]
	v_add_f64 v[140:141], v[140:141], -v[144:145]
	ds_load_b128 v[142:145], v8 offset:5184
	s_waitcnt lgkmcnt(0)
	v_fma_f64 v[167:168], v[146:147], -0.5, v[142:143]
	v_add_f64 v[146:147], v[66:67], v[74:75]
	v_add_f64 v[142:143], v[142:143], v[64:65]
	v_add_f64 v[64:65], v[64:65], -v[72:73]
	s_delay_alu instid0(VALU_DEP_3) | instskip(NEXT) | instid1(VALU_DEP_3)
	v_fma_f64 v[169:170], v[146:147], -0.5, v[144:145]
	v_add_f64 v[146:147], v[142:143], v[72:73]
	v_add_f64 v[142:143], v[56:57], v[70:71]
	v_add_f64 v[144:145], v[144:145], v[66:67]
	s_delay_alu instid0(VALU_DEP_4) | instskip(SKIP_1) | instid1(VALU_DEP_4)
	v_fma_f64 v[72:73], v[64:65], s[8:9], v[169:170]
	v_fma_f64 v[64:65], v[64:65], s[2:3], v[169:170]
	v_add_f64 v[153:154], v[142:143], v[78:79]
	v_add_f64 v[142:143], v[62:63], v[68:69]
	;; [unrolled: 1-line block ×3, first 2 shown]
	s_delay_alu instid0(VALU_DEP_2) | instskip(NEXT) | instid1(VALU_DEP_4)
	v_add_f64 v[155:156], v[142:143], v[76:77]
	v_add_f64 v[142:143], v[146:147], v[153:154]
	v_add_f64 v[146:147], v[146:147], -v[153:154]
	s_delay_alu instid0(VALU_DEP_3)
	v_add_f64 v[144:145], v[148:149], v[155:156]
	v_add_f64 v[148:149], v[148:149], -v[155:156]
	ds_load_b128 v[153:156], v8 offset:6912
	s_waitcnt lgkmcnt(0)
	s_waitcnt_vscnt null, 0x0
	s_barrier
	buffer_gl0_inv
	ds_store_b128 v106, v[111:114]
	ds_store_b128 v106, v[115:118] offset:4320
	v_add_f64 v[111:112], v[10:11], v[20:21]
	v_add_f64 v[9:10], v[10:11], -v[20:21]
	v_add_f64 v[20:21], v[92:93], v[18:19]
	v_add_f64 v[18:19], v[92:93], -v[18:19]
	v_add_f64 v[11:12], v[4:5], -v[12:13]
	scratch_store_b32 off, v106, off offset:1808 ; 4-byte Folded Spill
	v_fma_f64 v[171:172], v[157:158], -0.5, v[153:154]
	v_add_f64 v[157:158], v[86:87], v[98:99]
	v_add_f64 v[153:154], v[153:154], v[84:85]
	v_fma_f64 v[92:93], v[111:112], -0.5, v[0:1]
	v_fma_f64 v[111:112], v[14:15], s[2:3], v[119:120]
	v_fma_f64 v[20:21], v[20:21], -0.5, v[2:3]
	v_fma_f64 v[14:15], v[14:15], s[8:9], v[119:120]
	v_fma_f64 v[113:114], v[11:12], s[8:9], v[121:122]
	v_fma_f64 v[173:174], v[157:158], -0.5, v[155:156]
	v_add_f64 v[157:158], v[153:154], v[96:97]
	v_add_f64 v[153:154], v[80:81], v[90:91]
	;; [unrolled: 1-line block ×3, first 2 shown]
	v_fma_f64 v[2:3], v[18:19], s[2:3], v[92:93]
	v_fma_f64 v[18:19], v[18:19], s[8:9], v[92:93]
	;; [unrolled: 1-line block ×5, first 2 shown]
	v_add_f64 v[175:176], v[153:154], v[102:103]
	v_add_f64 v[153:154], v[82:83], v[88:89]
	;; [unrolled: 1-line block ×3, first 2 shown]
	v_mul_f64 v[11:12], v[18:19], -0.5
	v_mul_f64 v[4:5], v[0:1], s[2:3]
	s_delay_alu instid0(VALU_DEP_4)
	v_add_f64 v[177:178], v[153:154], v[100:101]
	v_add_f64 v[153:154], v[157:158], v[175:176]
	v_add_f64 v[157:158], v[157:158], -v[175:176]
	v_fma_f64 v[20:21], v[9:10], s[2:3], v[11:12]
	v_fma_f64 v[4:5], v[2:3], 0.5, v[4:5]
	v_mul_f64 v[2:3], v[2:3], s[8:9]
	v_mul_f64 v[9:10], v[9:10], -0.5
	v_add_f64 v[155:156], v[159:160], v[177:178]
	v_add_f64 v[159:160], v[159:160], -v[177:178]
	s_delay_alu instid0(VALU_DEP_4)
	v_fma_f64 v[6:7], v[0:1], 0.5, v[2:3]
	v_add_f64 v[0:1], v[111:112], v[4:5]
	v_add_f64 v[4:5], v[111:112], -v[4:5]
	v_fma_f64 v[111:112], v[18:19], s[8:9], v[9:10]
	v_add_f64 v[10:11], v[14:15], v[20:21]
	v_add_f64 v[18:19], v[14:15], -v[20:21]
	v_add_f64 v[14:15], v[30:31], v[38:39]
	v_add_f64 v[30:31], v[30:31], -v[38:39]
	;; [unrolled: 2-line block ×3, first 2 shown]
	v_fma_f64 v[36:37], v[26:27], s[2:3], v[150:151]
	v_add_f64 v[2:3], v[113:114], v[6:7]
	v_add_f64 v[6:7], v[113:114], -v[6:7]
	v_add_f64 v[12:13], v[92:93], v[111:112]
	v_add_f64 v[20:21], v[92:93], -v[111:112]
	v_fma_f64 v[92:93], v[32:33], s[8:9], v[161:162]
	v_fma_f64 v[34:35], v[14:15], -0.5, v[16:17]
	v_fma_f64 v[32:33], v[32:33], s[2:3], v[161:162]
	v_fma_f64 v[38:39], v[38:39], -0.5, v[22:23]
	ds_store_b128 v106, v[0:3] offset:1440
	ds_store_b128 v106, v[10:13] offset:2880
	;; [unrolled: 1-line block ×4, first 2 shown]
	v_and_b32_e32 v0, 0xffff, v94
	v_mad_u64_u32 v[4:5], null, 0x50, v179, s[10:11]
	v_fma_f64 v[16:17], v[28:29], s[2:3], v[34:35]
	v_fma_f64 v[28:29], v[28:29], s[8:9], v[34:35]
	;; [unrolled: 1-line block ×5, first 2 shown]
	v_mul_u32_u24_e32 v0, 0x21c, v0
	v_add_co_u32 v6, vcc_lo, 0x2000, v4
	v_add_co_ci_u32_e32 v7, vcc_lo, 0, v5, vcc_lo
	s_delay_alu instid0(VALU_DEP_3) | instskip(SKIP_3) | instid1(VALU_DEP_2)
	v_add_lshl_u32 v0, v0, v95, 4
	scratch_store_b32 off, v0, off offset:1756 ; 4-byte Folded Spill
	v_mul_f64 v[30:31], v[28:29], -0.5
	v_mul_f64 v[22:23], v[14:15], s[2:3]
	v_fma_f64 v[30:31], v[26:27], s[2:3], v[30:31]
	s_delay_alu instid0(VALU_DEP_2) | instskip(SKIP_2) | instid1(VALU_DEP_2)
	v_fma_f64 v[22:23], v[16:17], 0.5, v[22:23]
	v_mul_f64 v[16:17], v[16:17], s[8:9]
	v_mul_f64 v[26:27], v[26:27], -0.5
	v_fma_f64 v[24:25], v[14:15], 0.5, v[16:17]
	s_delay_alu instid0(VALU_DEP_4) | instskip(SKIP_1) | instid1(VALU_DEP_4)
	v_add_f64 v[14:15], v[36:37], v[22:23]
	v_add_f64 v[22:23], v[36:37], -v[22:23]
	v_fma_f64 v[36:37], v[28:29], s[8:9], v[26:27]
	v_add_f64 v[26:27], v[34:35], v[30:31]
	v_add_f64 v[30:31], v[34:35], -v[30:31]
	v_add_f64 v[34:35], v[50:51], v[60:61]
	v_add_f64 v[50:51], v[50:51], -v[60:61]
	v_add_f64 v[16:17], v[92:93], v[24:25]
	v_add_f64 v[24:25], v[92:93], -v[24:25]
	v_add_f64 v[28:29], v[32:33], v[36:37]
	v_add_f64 v[32:33], v[32:33], -v[36:37]
	v_add_f64 v[36:37], v[48:49], v[58:59]
	v_add_f64 v[48:49], v[48:49], -v[58:59]
	v_fma_f64 v[52:53], v[34:35], -0.5, v[40:41]
	v_fma_f64 v[58:59], v[44:45], s[8:9], v[165:166]
	ds_store_b128 v0, v[124:127]
	ds_store_b128 v0, v[14:17] offset:1440
	ds_store_b128 v0, v[26:29] offset:2880
	;; [unrolled: 1-line block ×5, first 2 shown]
	v_mad_u16 v0, 0x21c, v104, v105
	v_fma_f64 v[42:43], v[36:37], -0.5, v[42:43]
	v_fma_f64 v[36:37], v[48:49], s[2:3], v[52:53]
	v_fma_f64 v[48:49], v[48:49], s[8:9], v[52:53]
	;; [unrolled: 1-line block ×3, first 2 shown]
	v_and_b32_e32 v0, 0xffff, v0
	s_delay_alu instid0(VALU_DEP_1) | instskip(SKIP_1) | instid1(VALU_DEP_1)
	v_lshlrev_b32_e32 v207, 4, v0
	v_mad_u16 v0, 0x21c, v107, v108
	v_and_b32_e32 v0, 0xffff, v0
	s_delay_alu instid0(VALU_DEP_1) | instskip(SKIP_3) | instid1(VALU_DEP_3)
	v_lshlrev_b32_e32 v0, 4, v0
	v_fma_f64 v[34:35], v[50:51], s[8:9], v[42:43]
	v_fma_f64 v[42:43], v[50:51], s[2:3], v[42:43]
	v_mul_f64 v[44:45], v[48:49], -0.5
	v_mul_f64 v[38:39], v[34:35], s[2:3]
	s_delay_alu instid0(VALU_DEP_2) | instskip(SKIP_1) | instid1(VALU_DEP_3)
	v_fma_f64 v[50:51], v[42:43], s[2:3], v[44:45]
	v_mul_f64 v[42:43], v[42:43], -0.5
	v_fma_f64 v[38:39], v[36:37], 0.5, v[38:39]
	v_mul_f64 v[36:37], v[36:37], s[8:9]
	s_delay_alu instid0(VALU_DEP_3)
	v_fma_f64 v[48:49], v[48:49], s[8:9], v[42:43]
	v_add_f64 v[42:43], v[46:47], v[50:51]
	v_add_f64 v[46:47], v[46:47], -v[50:51]
	v_add_f64 v[50:51], v[70:71], v[78:79]
	v_fma_f64 v[40:41], v[34:35], 0.5, v[36:37]
	v_add_f64 v[34:35], v[54:55], v[38:39]
	v_add_f64 v[38:39], v[54:55], -v[38:39]
	v_add_f64 v[44:45], v[52:53], v[48:49]
	v_add_f64 v[48:49], v[52:53], -v[48:49]
	v_add_f64 v[52:53], v[68:69], v[76:77]
	v_add_f64 v[36:37], v[58:59], v[40:41]
	v_add_f64 v[40:41], v[58:59], -v[40:41]
	v_add_f64 v[58:59], v[70:71], -v[78:79]
	;; [unrolled: 1-line block ×3, first 2 shown]
	ds_store_b128 v207, v[134:137]
	ds_store_b128 v207, v[34:37] offset:1440
	ds_store_b128 v207, v[42:45] offset:2880
	;; [unrolled: 1-line block ×5, first 2 shown]
	v_fma_f64 v[60:61], v[52:53], -0.5, v[62:63]
	v_add_f64 v[62:63], v[66:67], -v[74:75]
	v_add_f64 v[66:67], v[68:69], -v[76:77]
	v_fma_f64 v[68:69], v[50:51], -0.5, v[56:57]
	v_add_f64 v[74:75], v[90:91], -v[102:103]
	v_fma_f64 v[86:87], v[78:79], s[2:3], v[171:172]
	v_fma_f64 v[78:79], v[78:79], s[8:9], v[171:172]
	scratch_store_b32 off, v0, off offset:1656 ; 4-byte Folded Spill
	v_fma_f64 v[50:51], v[58:59], s[8:9], v[60:61]
	v_fma_f64 v[58:59], v[58:59], s[2:3], v[60:61]
	;; [unrolled: 1-line block ×6, first 2 shown]
	v_mul_f64 v[54:55], v[50:51], s[2:3]
	s_delay_alu instid0(VALU_DEP_3) | instskip(NEXT) | instid1(VALU_DEP_2)
	v_mul_f64 v[60:61], v[66:67], -0.5
	v_fma_f64 v[54:55], v[52:53], 0.5, v[54:55]
	v_mul_f64 v[52:53], v[52:53], s[8:9]
	s_delay_alu instid0(VALU_DEP_3) | instskip(SKIP_1) | instid1(VALU_DEP_3)
	v_fma_f64 v[68:69], v[58:59], s[2:3], v[60:61]
	v_mul_f64 v[58:59], v[58:59], -0.5
	v_fma_f64 v[56:57], v[50:51], 0.5, v[52:53]
	v_add_f64 v[50:51], v[70:71], v[54:55]
	v_add_f64 v[54:55], v[70:71], -v[54:55]
	s_delay_alu instid0(VALU_DEP_4)
	v_fma_f64 v[66:67], v[66:67], s[8:9], v[58:59]
	v_add_f64 v[58:59], v[62:63], v[68:69]
	v_add_f64 v[62:63], v[62:63], -v[68:69]
	v_add_f64 v[68:69], v[88:89], v[100:101]
	v_add_f64 v[52:53], v[72:73], v[56:57]
	v_add_f64 v[56:57], v[72:73], -v[56:57]
	v_add_f64 v[60:61], v[64:65], v[66:67]
	v_add_f64 v[64:65], v[64:65], -v[66:67]
	v_add_f64 v[66:67], v[90:91], v[102:103]
	v_fma_f64 v[76:77], v[68:69], -0.5, v[82:83]
	v_add_f64 v[82:83], v[84:85], -v[96:97]
	v_add_f64 v[84:85], v[88:89], -v[100:101]
	ds_store_b128 v0, v[142:145]
	ds_store_b128 v0, v[50:53] offset:1440
	ds_store_b128 v0, v[58:61] offset:2880
	;; [unrolled: 1-line block ×5, first 2 shown]
	v_mad_u16 v0, 0x21c, v109, v110
	v_fma_f64 v[80:81], v[66:67], -0.5, v[80:81]
	v_fma_f64 v[66:67], v[74:75], s[8:9], v[76:77]
	v_fma_f64 v[74:75], v[74:75], s[2:3], v[76:77]
	;; [unrolled: 1-line block ×4, first 2 shown]
	v_and_b32_e32 v0, 0xffff, v0
	s_delay_alu instid0(VALU_DEP_1) | instskip(SKIP_4) | instid1(VALU_DEP_2)
	v_lshlrev_b32_e32 v0, 4, v0
	scratch_store_b32 off, v0, off offset:1572 ; 4-byte Folded Spill
	v_fma_f64 v[68:69], v[84:85], s[2:3], v[80:81]
	v_fma_f64 v[80:81], v[84:85], s[8:9], v[80:81]
	v_mul_f64 v[70:71], v[66:67], s[2:3]
	v_mul_f64 v[76:77], v[80:81], -0.5
	s_delay_alu instid0(VALU_DEP_2) | instskip(SKIP_1) | instid1(VALU_DEP_3)
	v_fma_f64 v[70:71], v[68:69], 0.5, v[70:71]
	v_mul_f64 v[68:69], v[68:69], s[8:9]
	v_fma_f64 v[84:85], v[74:75], s[2:3], v[76:77]
	v_mul_f64 v[74:75], v[74:75], -0.5
	s_delay_alu instid0(VALU_DEP_3) | instskip(SKIP_2) | instid1(VALU_DEP_4)
	v_fma_f64 v[72:73], v[66:67], 0.5, v[68:69]
	v_add_f64 v[66:67], v[86:87], v[70:71]
	v_add_f64 v[70:71], v[86:87], -v[70:71]
	v_fma_f64 v[80:81], v[80:81], s[8:9], v[74:75]
	s_delay_alu instid0(VALU_DEP_4)
	v_add_f64 v[68:69], v[88:89], v[72:73]
	v_add_f64 v[74:75], v[78:79], v[84:85]
	v_add_f64 v[72:73], v[88:89], -v[72:73]
	v_add_f64 v[78:79], v[78:79], -v[84:85]
	v_add_f64 v[76:77], v[82:83], v[80:81]
	v_add_f64 v[80:81], v[82:83], -v[80:81]
	ds_store_b128 v0, v[153:156]
	ds_store_b128 v0, v[66:69] offset:1440
	ds_store_b128 v0, v[74:77] offset:2880
	;; [unrolled: 1-line block ×5, first 2 shown]
	s_waitcnt lgkmcnt(0)
	s_waitcnt_vscnt null, 0x0
	s_barrier
	buffer_gl0_inv
	global_load_b128 v[11:14], v[6:7], off offset:400
	ds_load_b128 v[0:3], v8 offset:8640
	ds_load_b128 v[60:63], v8 offset:41472
	s_waitcnt vmcnt(0) lgkmcnt(1)
	v_mul_f64 v[9:10], v[2:3], v[13:14]
	scratch_store_b128 off, v[11:14], off offset:1640 ; 16-byte Folded Spill
	v_fma_f64 v[135:136], v[0:1], v[11:12], -v[9:10]
	v_add_co_u32 v9, vcc_lo, 0x2190, v4
	v_add_co_ci_u32_e32 v10, vcc_lo, 0, v5, vcc_lo
	v_mul_f64 v[0:1], v[0:1], v[13:14]
	global_load_b128 v[13:16], v[9:10], off offset:16
	v_fma_f64 v[133:134], v[2:3], v[11:12], v[0:1]
	ds_load_b128 v[0:3], v8 offset:17280
	s_waitcnt vmcnt(0) lgkmcnt(0)
	v_mul_f64 v[11:12], v[2:3], v[15:16]
	scratch_store_b128 off, v[13:16], off offset:1624 ; 16-byte Folded Spill
	v_fma_f64 v[122:123], v[0:1], v[13:14], -v[11:12]
	v_mul_f64 v[0:1], v[0:1], v[15:16]
	s_delay_alu instid0(VALU_DEP_1)
	v_fma_f64 v[108:109], v[2:3], v[13:14], v[0:1]
	global_load_b128 v[13:16], v[9:10], off offset:32
	ds_load_b128 v[0:3], v8 offset:25920
	s_waitcnt vmcnt(0) lgkmcnt(0)
	v_mul_f64 v[11:12], v[2:3], v[15:16]
	scratch_store_b128 off, v[13:16], off offset:1608 ; 16-byte Folded Spill
	v_fma_f64 v[102:103], v[0:1], v[13:14], -v[11:12]
	v_mul_f64 v[0:1], v[0:1], v[15:16]
	s_delay_alu instid0(VALU_DEP_1)
	v_fma_f64 v[106:107], v[2:3], v[13:14], v[0:1]
	global_load_b128 v[11:14], v[9:10], off offset:48
	ds_load_b128 v[0:3], v8 offset:34560
	s_waitcnt vmcnt(0) lgkmcnt(0)
	v_mul_f64 v[9:10], v[2:3], v[13:14]
	scratch_store_b128 off, v[11:14], off offset:1592 ; 16-byte Folded Spill
	v_fma_f64 v[100:101], v[0:1], v[11:12], -v[9:10]
	v_mul_f64 v[0:1], v[0:1], v[13:14]
	s_delay_alu instid0(VALU_DEP_1) | instskip(SKIP_4) | instid1(VALU_DEP_1)
	v_fma_f64 v[98:99], v[2:3], v[11:12], v[0:1]
	global_load_b128 v[11:14], v[6:7], off offset:464
	ds_load_b128 v[0:3], v8 offset:43200
	s_waitcnt vmcnt(0) lgkmcnt(0)
	v_mul_f64 v[6:7], v[2:3], v[13:14]
	v_fma_f64 v[9:10], v[0:1], v[11:12], -v[6:7]
	v_add_co_u32 v6, vcc_lo, 0x4000, v4
	v_add_co_ci_u32_e32 v7, vcc_lo, 0, v5, vcc_lo
	v_mul_f64 v[0:1], v[0:1], v[13:14]
	global_load_b128 v[15:18], v[6:7], off offset:848
	scratch_store_b128 off, v[11:14], off offset:1660 ; 16-byte Folded Spill
	v_fma_f64 v[11:12], v[2:3], v[11:12], v[0:1]
	ds_load_b128 v[0:3], v8 offset:10368
	s_waitcnt vmcnt(0)
	scratch_store_b128 off, v[15:18], off offset:1708 ; 16-byte Folded Spill
	s_waitcnt lgkmcnt(0)
	v_mul_f64 v[13:14], v[2:3], v[17:18]
	s_delay_alu instid0(VALU_DEP_1)
	v_fma_f64 v[139:140], v[0:1], v[15:16], -v[13:14]
	v_add_co_u32 v13, vcc_lo, 0x4350, v4
	v_add_co_ci_u32_e32 v14, vcc_lo, 0, v5, vcc_lo
	v_mul_f64 v[0:1], v[0:1], v[17:18]
	global_load_b128 v[17:20], v[13:14], off offset:16
	v_fma_f64 v[137:138], v[2:3], v[15:16], v[0:1]
	ds_load_b128 v[0:3], v8 offset:19008
	s_waitcnt vmcnt(0) lgkmcnt(0)
	v_mul_f64 v[15:16], v[2:3], v[19:20]
	scratch_store_b128 off, v[17:20], off offset:1724 ; 16-byte Folded Spill
	v_fma_f64 v[80:81], v[0:1], v[17:18], -v[15:16]
	v_mul_f64 v[0:1], v[0:1], v[19:20]
	s_delay_alu instid0(VALU_DEP_1)
	v_fma_f64 v[76:77], v[2:3], v[17:18], v[0:1]
	global_load_b128 v[17:20], v[13:14], off offset:32
	ds_load_b128 v[0:3], v8 offset:27648
	s_waitcnt vmcnt(0) lgkmcnt(0)
	v_mul_f64 v[15:16], v[2:3], v[19:20]
	scratch_store_b128 off, v[17:20], off offset:1692 ; 16-byte Folded Spill
	v_fma_f64 v[68:69], v[0:1], v[17:18], -v[15:16]
	v_mul_f64 v[0:1], v[0:1], v[19:20]
	s_delay_alu instid0(VALU_DEP_1)
	v_fma_f64 v[72:73], v[2:3], v[17:18], v[0:1]
	global_load_b128 v[15:18], v[13:14], off offset:48
	;; [unrolled: 9-line block ×3, first 2 shown]
	ds_load_b128 v[0:3], v8 offset:44928
	s_waitcnt vmcnt(0) lgkmcnt(0)
	v_mul_f64 v[6:7], v[2:3], v[15:16]
	scratch_store_b128 off, v[13:16], off offset:1740 ; 16-byte Folded Spill
	v_fma_f64 v[126:127], v[0:1], v[13:14], -v[6:7]
	v_add_co_u32 v6, vcc_lo, 0x6000, v4
	v_add_co_ci_u32_e32 v7, vcc_lo, 0, v5, vcc_lo
	v_mul_f64 v[0:1], v[0:1], v[15:16]
	s_clause 0x1
	global_load_b128 v[15:18], v[6:7], off offset:1296
	global_load_b128 v[203:206], v[6:7], off offset:1360
	v_fma_f64 v[104:105], v[2:3], v[13:14], v[0:1]
	ds_load_b128 v[0:3], v8 offset:12096
	s_waitcnt vmcnt(1) lgkmcnt(0)
	v_mul_f64 v[13:14], v[2:3], v[17:18]
	scratch_store_b128 off, v[15:18], off offset:1792 ; 16-byte Folded Spill
	v_fma_f64 v[147:148], v[0:1], v[15:16], -v[13:14]
	v_add_co_u32 v13, vcc_lo, 0x6510, v4
	v_add_co_ci_u32_e32 v14, vcc_lo, 0, v5, vcc_lo
	v_mul_f64 v[0:1], v[0:1], v[17:18]
	s_clause 0x1
	global_load_b128 v[252:255], v[13:14], off offset:16
	global_load_b128 v[17:20], v[13:14], off offset:32
	v_fma_f64 v[145:146], v[2:3], v[15:16], v[0:1]
	ds_load_b128 v[0:3], v8 offset:20736
	s_waitcnt vmcnt(1) lgkmcnt(0)
	v_mul_f64 v[15:16], v[2:3], v[254:255]
	s_waitcnt vmcnt(0)
	scratch_store_b128 off, v[17:20], off offset:1776 ; 16-byte Folded Spill
	v_fma_f64 v[56:57], v[0:1], v[252:253], -v[15:16]
	v_mul_f64 v[0:1], v[0:1], v[254:255]
	s_delay_alu instid0(VALU_DEP_1) | instskip(SKIP_3) | instid1(VALU_DEP_1)
	v_fma_f64 v[96:97], v[2:3], v[252:253], v[0:1]
	ds_load_b128 v[0:3], v8 offset:29376
	s_waitcnt lgkmcnt(0)
	v_mul_f64 v[15:16], v[2:3], v[19:20]
	v_fma_f64 v[82:83], v[0:1], v[17:18], -v[15:16]
	v_mul_f64 v[0:1], v[0:1], v[19:20]
	s_delay_alu instid0(VALU_DEP_1)
	v_fma_f64 v[49:50], v[2:3], v[17:18], v[0:1]
	global_load_b128 v[15:18], v[13:14], off offset:48
	ds_load_b128 v[0:3], v8 offset:38016
	s_waitcnt vmcnt(0) lgkmcnt(0)
	v_mul_f64 v[13:14], v[2:3], v[17:18]
	scratch_store_b128 off, v[15:18], off offset:1760 ; 16-byte Folded Spill
	v_fma_f64 v[51:52], v[0:1], v[15:16], -v[13:14]
	v_mul_f64 v[0:1], v[0:1], v[17:18]
	s_delay_alu instid0(VALU_DEP_1) | instskip(SKIP_3) | instid1(VALU_DEP_1)
	v_fma_f64 v[54:55], v[2:3], v[15:16], v[0:1]
	ds_load_b128 v[0:3], v8 offset:46656
	s_waitcnt lgkmcnt(0)
	v_mul_f64 v[6:7], v[2:3], v[205:206]
	v_fma_f64 v[70:71], v[0:1], v[203:204], -v[6:7]
	v_add_co_u32 v6, vcc_lo, 0x8000, v4
	v_add_co_ci_u32_e32 v7, vcc_lo, 0, v5, vcc_lo
	s_clause 0x1
	global_load_b128 v[195:198], v[6:7], off offset:1808
	global_load_b128 v[199:202], v[6:7], off offset:1744
	v_mul_f64 v[0:1], v[0:1], v[205:206]
	s_delay_alu instid0(VALU_DEP_1) | instskip(SKIP_3) | instid1(VALU_DEP_1)
	v_fma_f64 v[92:93], v[2:3], v[203:204], v[0:1]
	ds_load_b128 v[0:3], v8 offset:13824
	s_waitcnt vmcnt(0) lgkmcnt(0)
	v_mul_f64 v[13:14], v[2:3], v[201:202]
	v_fma_f64 v[173:174], v[0:1], v[199:200], -v[13:14]
	v_add_co_u32 v13, vcc_lo, 0x86d0, v4
	v_add_co_ci_u32_e32 v14, vcc_lo, 0, v5, vcc_lo
	v_mul_f64 v[0:1], v[0:1], v[201:202]
	s_clause 0x2
	global_load_b128 v[159:162], v[13:14], off offset:16
	global_load_b128 v[187:190], v[13:14], off offset:32
	;; [unrolled: 1-line block ×3, first 2 shown]
	v_fma_f64 v[175:176], v[2:3], v[199:200], v[0:1]
	ds_load_b128 v[0:3], v8 offset:22464
	s_waitcnt vmcnt(2) lgkmcnt(0)
	v_mul_f64 v[15:16], v[2:3], v[161:162]
	s_delay_alu instid0(VALU_DEP_1) | instskip(SKIP_1) | instid1(VALU_DEP_1)
	v_fma_f64 v[35:36], v[0:1], v[159:160], -v[15:16]
	v_mul_f64 v[0:1], v[0:1], v[161:162]
	v_fma_f64 v[66:67], v[2:3], v[159:160], v[0:1]
	ds_load_b128 v[0:3], v8 offset:31104
	s_waitcnt vmcnt(1) lgkmcnt(0)
	v_mul_f64 v[15:16], v[2:3], v[189:190]
	s_delay_alu instid0(VALU_DEP_1) | instskip(SKIP_1) | instid1(VALU_DEP_1)
	v_fma_f64 v[64:65], v[0:1], v[187:188], -v[15:16]
	v_mul_f64 v[0:1], v[0:1], v[189:190]
	v_fma_f64 v[47:48], v[2:3], v[187:188], v[0:1]
	ds_load_b128 v[0:3], v8 offset:39744
	s_waitcnt vmcnt(0) lgkmcnt(0)
	v_mul_f64 v[13:14], v[2:3], v[193:194]
	s_delay_alu instid0(VALU_DEP_1) | instskip(SKIP_4) | instid1(VALU_DEP_1)
	v_fma_f64 v[88:89], v[0:1], v[191:192], -v[13:14]
	v_add_co_u32 v13, vcc_lo, 0xa000, v4
	v_add_co_ci_u32_e32 v14, vcc_lo, 0, v5, vcc_lo
	global_load_b128 v[155:158], v[13:14], off offset:2192
	v_mul_f64 v[0:1], v[0:1], v[193:194]
	v_fma_f64 v[74:75], v[2:3], v[191:192], v[0:1]
	ds_load_b128 v[0:3], v8 offset:48384
	s_waitcnt lgkmcnt(0)
	v_mul_f64 v[6:7], v[2:3], v[197:198]
	s_delay_alu instid0(VALU_DEP_1) | instskip(SKIP_1) | instid1(VALU_DEP_1)
	v_fma_f64 v[78:79], v[0:1], v[195:196], -v[6:7]
	v_mul_f64 v[0:1], v[0:1], v[197:198]
	v_fma_f64 v[177:178], v[2:3], v[195:196], v[0:1]
	ds_load_b128 v[0:3], v8 offset:15552
	s_waitcnt vmcnt(0) lgkmcnt(0)
	v_mul_f64 v[6:7], v[2:3], v[157:158]
	s_delay_alu instid0(VALU_DEP_1) | instskip(SKIP_1) | instid1(VALU_DEP_1)
	v_fma_f64 v[84:85], v[0:1], v[155:156], -v[6:7]
	v_mul_f64 v[0:1], v[0:1], v[157:158]
	v_fma_f64 v[112:113], v[2:3], v[155:156], v[0:1]
	v_add_co_u32 v0, vcc_lo, 0xa890, v4
	v_add_co_ci_u32_e32 v1, vcc_lo, 0, v5, vcc_lo
	ds_load_b128 v[4:7], v8 offset:24192
	s_clause 0x1
	global_load_b128 v[151:154], v[0:1], off offset:16
	global_load_b128 v[15:18], v[0:1], off offset:32
	s_waitcnt vmcnt(1) lgkmcnt(0)
	v_mul_f64 v[2:3], v[6:7], v[153:154]
	s_delay_alu instid0(VALU_DEP_1) | instskip(SKIP_1) | instid1(VALU_DEP_1)
	v_fma_f64 v[19:20], v[4:5], v[151:152], -v[2:3]
	v_mul_f64 v[2:3], v[4:5], v[153:154]
	v_fma_f64 v[86:87], v[6:7], v[151:152], v[2:3]
	ds_load_b128 v[4:7], v8 offset:32832
	s_waitcnt vmcnt(0) lgkmcnt(0)
	v_mul_f64 v[2:3], v[6:7], v[17:18]
	s_delay_alu instid0(VALU_DEP_1) | instskip(SKIP_1) | instid1(VALU_DEP_1)
	v_fma_f64 v[90:91], v[4:5], v[15:16], -v[2:3]
	v_mul_f64 v[2:3], v[4:5], v[17:18]
	v_fma_f64 v[23:24], v[6:7], v[15:16], v[2:3]
	global_load_b128 v[2:5], v[0:1], off offset:48
	scratch_store_b128 off, v[15:18], off offset:1812 ; 16-byte Folded Spill
	v_add_f64 v[15:16], v[133:134], v[106:107]
	v_add_f64 v[17:18], v[112:113], v[23:24]
	s_delay_alu instid0(VALU_DEP_2) | instskip(SKIP_3) | instid1(VALU_DEP_1)
	v_add_f64 v[15:16], v[15:16], v[11:12]
	s_waitcnt vmcnt(0)
	scratch_store_b128 off, v[2:5], off offset:1148 ; 16-byte Folded Spill
	v_mul_f64 v[0:1], v[62:63], v[4:5]
	v_fma_f64 v[118:119], v[60:61], v[2:3], -v[0:1]
	v_mul_f64 v[0:1], v[60:61], v[4:5]
	s_delay_alu instid0(VALU_DEP_1) | instskip(SKIP_3) | instid1(VALU_DEP_1)
	v_fma_f64 v[94:95], v[62:63], v[2:3], v[0:1]
	global_load_b128 v[2:5], v[13:14], off offset:2256
	ds_load_b128 v[60:63], v8 offset:50112
	v_add_f64 v[13:14], v[135:136], v[102:103]
	v_add_f64 v[13:14], v[13:14], v[9:10]
	s_waitcnt vmcnt(0) lgkmcnt(0)
	v_mul_f64 v[0:1], v[62:63], v[4:5]
	scratch_store_b128 off, v[2:5], off offset:1164 ; 16-byte Folded Spill
	v_fma_f64 v[124:125], v[60:61], v[2:3], -v[0:1]
	v_mul_f64 v[0:1], v[60:61], v[4:5]
	s_delay_alu instid0(VALU_DEP_1)
	v_fma_f64 v[120:121], v[62:63], v[2:3], v[0:1]
	v_add_f64 v[0:1], v[122:123], v[100:101]
	ds_load_b128 v[60:63], v8
	s_waitcnt lgkmcnt(0)
	v_add_f64 v[2:3], v[62:63], v[108:109]
	v_add_f64 v[17:18], v[17:18], v[120:121]
	v_fma_f64 v[4:5], v[0:1], -0.5, v[60:61]
	v_add_f64 v[0:1], v[108:109], v[98:99]
	s_delay_alu instid0(VALU_DEP_4) | instskip(NEXT) | instid1(VALU_DEP_2)
	v_add_f64 v[2:3], v[2:3], v[98:99]
	v_fma_f64 v[6:7], v[0:1], -0.5, v[62:63]
	v_add_f64 v[0:1], v[60:61], v[122:123]
	s_delay_alu instid0(VALU_DEP_3) | instskip(SKIP_2) | instid1(VALU_DEP_4)
	v_add_f64 v[62:63], v[2:3], v[15:16]
	v_add_f64 v[131:132], v[2:3], -v[15:16]
	v_add_f64 v[15:16], v[137:138], v[72:73]
	v_add_f64 v[0:1], v[0:1], v[100:101]
	s_delay_alu instid0(VALU_DEP_2) | instskip(NEXT) | instid1(VALU_DEP_2)
	v_add_f64 v[15:16], v[15:16], v[104:105]
	v_add_f64 v[60:61], v[0:1], v[13:14]
	v_add_f64 v[129:130], v[0:1], -v[13:14]
	v_add_f64 v[13:14], v[80:81], v[110:111]
	ds_load_b128 v[0:3], v8 offset:1728
	s_waitcnt lgkmcnt(0)
	v_fma_f64 v[45:46], v[13:14], -0.5, v[0:1]
	v_add_f64 v[13:14], v[76:77], v[58:59]
	v_add_f64 v[0:1], v[0:1], v[80:81]
	s_delay_alu instid0(VALU_DEP_2) | instskip(SKIP_2) | instid1(VALU_DEP_4)
	v_fma_f64 v[171:172], v[13:14], -0.5, v[2:3]
	v_add_f64 v[13:14], v[139:140], v[68:69]
	v_add_f64 v[2:3], v[2:3], v[76:77]
	;; [unrolled: 1-line block ×3, first 2 shown]
	s_delay_alu instid0(VALU_DEP_3) | instskip(NEXT) | instid1(VALU_DEP_3)
	v_add_f64 v[13:14], v[13:14], v[126:127]
	v_add_f64 v[2:3], v[2:3], v[58:59]
	v_add_f64 v[58:59], v[76:77], -v[58:59]
	v_add_f64 v[76:77], v[80:81], -v[110:111]
	s_delay_alu instid0(VALU_DEP_4)
	v_add_f64 v[41:42], v[0:1], v[13:14]
	v_add_f64 v[37:38], v[0:1], -v[13:14]
	v_add_f64 v[13:14], v[56:57], v[51:52]
	v_add_f64 v[43:44], v[2:3], v[15:16]
	v_add_f64 v[39:40], v[2:3], -v[15:16]
	ds_load_b128 v[0:3], v8 offset:3456
	v_add_f64 v[15:16], v[145:146], v[49:50]
	v_fma_f64 v[110:111], v[76:77], s[8:9], v[171:172]
	s_waitcnt lgkmcnt(0)
	v_fma_f64 v[33:34], v[13:14], -0.5, v[0:1]
	v_add_f64 v[13:14], v[96:97], v[54:55]
	v_add_f64 v[0:1], v[0:1], v[56:57]
	;; [unrolled: 1-line block ×3, first 2 shown]
	s_delay_alu instid0(VALU_DEP_3) | instskip(SKIP_3) | instid1(VALU_DEP_3)
	v_fma_f64 v[169:170], v[13:14], -0.5, v[2:3]
	v_add_f64 v[13:14], v[147:148], v[82:83]
	v_add_f64 v[2:3], v[2:3], v[96:97]
	;; [unrolled: 1-line block ×4, first 2 shown]
	s_delay_alu instid0(VALU_DEP_3) | instskip(NEXT) | instid1(VALU_DEP_2)
	v_add_f64 v[2:3], v[2:3], v[54:55]
	v_add_f64 v[179:180], v[0:1], v[13:14]
	v_add_f64 v[29:30], v[0:1], -v[13:14]
	v_add_f64 v[13:14], v[35:36], v[88:89]
	s_delay_alu instid0(VALU_DEP_4)
	v_add_f64 v[181:182], v[2:3], v[15:16]
	v_add_f64 v[31:32], v[2:3], -v[15:16]
	ds_load_b128 v[0:3], v8 offset:5184
	v_add_f64 v[15:16], v[175:176], v[47:48]
	s_waitcnt lgkmcnt(0)
	v_fma_f64 v[21:22], v[13:14], -0.5, v[0:1]
	v_add_f64 v[13:14], v[66:67], v[74:75]
	v_add_f64 v[0:1], v[0:1], v[35:36]
	v_add_f64 v[35:36], v[35:36], -v[88:89]
	v_add_f64 v[15:16], v[15:16], v[177:178]
	s_delay_alu instid0(VALU_DEP_4) | instskip(SKIP_3) | instid1(VALU_DEP_4)
	v_fma_f64 v[167:168], v[13:14], -0.5, v[2:3]
	v_add_f64 v[2:3], v[2:3], v[66:67]
	v_add_f64 v[13:14], v[173:174], v[64:65]
	;; [unrolled: 1-line block ×3, first 2 shown]
	v_fma_f64 v[88:89], v[35:36], s[8:9], v[167:168]
	s_delay_alu instid0(VALU_DEP_4) | instskip(NEXT) | instid1(VALU_DEP_4)
	v_add_f64 v[2:3], v[2:3], v[74:75]
	v_add_f64 v[13:14], v[13:14], v[78:79]
	v_fma_f64 v[35:36], v[35:36], s[2:3], v[167:168]
	s_delay_alu instid0(VALU_DEP_3) | instskip(NEXT) | instid1(VALU_DEP_3)
	v_add_f64 v[27:28], v[2:3], v[15:16]
	v_add_f64 v[25:26], v[0:1], v[13:14]
	v_add_f64 v[141:142], v[0:1], -v[13:14]
	v_add_f64 v[143:144], v[2:3], -v[15:16]
	v_add_f64 v[13:14], v[19:20], v[118:119]
	v_add_f64 v[15:16], v[86:87], v[94:95]
	ds_load_b128 v[0:3], v8 offset:6912
	s_waitcnt lgkmcnt(0)
	v_fma_f64 v[13:14], v[13:14], -0.5, v[0:1]
	v_fma_f64 v[165:166], v[15:16], -0.5, v[2:3]
	v_add_f64 v[0:1], v[0:1], v[19:20]
	v_add_f64 v[15:16], v[84:85], v[90:91]
	;; [unrolled: 1-line block ×3, first 2 shown]
	v_add_f64 v[19:20], v[19:20], -v[118:119]
	s_delay_alu instid0(VALU_DEP_4) | instskip(NEXT) | instid1(VALU_DEP_4)
	v_add_f64 v[0:1], v[0:1], v[118:119]
	v_add_f64 v[15:16], v[15:16], v[124:125]
	s_delay_alu instid0(VALU_DEP_4) | instskip(NEXT) | instid1(VALU_DEP_2)
	v_add_f64 v[2:3], v[2:3], v[94:95]
	v_add_f64 v[114:115], v[0:1], v[15:16]
	v_add_f64 v[15:16], v[0:1], -v[15:16]
	v_add_f64 v[0:1], v[102:103], v[9:10]
	s_delay_alu instid0(VALU_DEP_4)
	v_add_f64 v[116:117], v[2:3], v[17:18]
	v_add_f64 v[17:18], v[2:3], -v[17:18]
	v_add_f64 v[2:3], v[102:103], -v[9:10]
	v_add_f64 v[9:10], v[106:107], v[11:12]
	v_add_f64 v[11:12], v[106:107], -v[11:12]
	v_add_f64 v[102:103], v[108:109], -v[98:99]
	;; [unrolled: 1-line block ×3, first 2 shown]
	v_fma_f64 v[0:1], v[0:1], -0.5, v[135:136]
	v_fma_f64 v[9:10], v[9:10], -0.5, v[133:134]
	s_delay_alu instid0(VALU_DEP_4)
	v_fma_f64 v[133:134], v[102:103], s[2:3], v[4:5]
	v_fma_f64 v[4:5], v[102:103], s[8:9], v[4:5]
	;; [unrolled: 1-line block ×7, first 2 shown]
	v_add_f64 v[76:77], v[49:50], -v[92:93]
	v_fma_f64 v[100:101], v[11:12], s[2:3], v[0:1]
	v_fma_f64 v[0:1], v[11:12], s[8:9], v[0:1]
	;; [unrolled: 1-line block ×4, first 2 shown]
	s_delay_alu instid0(VALU_DEP_3) | instskip(NEXT) | instid1(VALU_DEP_3)
	v_mul_f64 v[9:10], v[0:1], -0.5
	v_mul_f64 v[106:107], v[98:99], s[2:3]
	s_delay_alu instid0(VALU_DEP_2) | instskip(SKIP_1) | instid1(VALU_DEP_3)
	v_fma_f64 v[102:103], v[2:3], s[2:3], v[9:10]
	v_mul_f64 v[2:3], v[2:3], -0.5
	v_fma_f64 v[106:107], v[100:101], 0.5, v[106:107]
	v_mul_f64 v[100:101], v[100:101], s[8:9]
	s_delay_alu instid0(VALU_DEP_4) | instskip(NEXT) | instid1(VALU_DEP_4)
	v_add_f64 v[9:10], v[4:5], v[102:103]
	v_fma_f64 v[0:1], v[0:1], s[8:9], v[2:3]
	v_add_f64 v[2:3], v[68:69], -v[126:127]
	v_add_f64 v[4:5], v[4:5], -v[102:103]
	v_fma_f64 v[122:123], v[98:99], 0.5, v[100:101]
	v_add_f64 v[98:99], v[133:134], v[106:107]
	v_add_f64 v[133:134], v[133:134], -v[106:107]
	v_add_f64 v[11:12], v[6:7], v[0:1]
	v_add_f64 v[6:7], v[6:7], -v[0:1]
	v_add_f64 v[0:1], v[68:69], v[126:127]
	v_add_f64 v[68:69], v[72:73], v[104:105]
	v_add_f64 v[72:73], v[72:73], -v[104:105]
	v_add_f64 v[100:101], v[135:136], v[122:123]
	v_add_f64 v[135:136], v[135:136], -v[122:123]
	v_fma_f64 v[0:1], v[0:1], -0.5, v[139:140]
	v_fma_f64 v[68:69], v[68:69], -0.5, v[137:138]
	s_delay_alu instid0(VALU_DEP_2) | instskip(SKIP_1) | instid1(VALU_DEP_3)
	v_fma_f64 v[102:103], v[72:73], s[2:3], v[0:1]
	v_fma_f64 v[0:1], v[72:73], s[8:9], v[0:1]
	;; [unrolled: 1-line block ×4, first 2 shown]
	v_add_f64 v[72:73], v[56:57], -v[51:52]
	s_delay_alu instid0(VALU_DEP_4) | instskip(NEXT) | instid1(VALU_DEP_4)
	v_mul_f64 v[68:69], v[0:1], -0.5
	v_mul_f64 v[104:105], v[80:81], s[2:3]
	s_delay_alu instid0(VALU_DEP_2) | instskip(SKIP_1) | instid1(VALU_DEP_3)
	v_fma_f64 v[68:69], v[2:3], s[2:3], v[68:69]
	v_mul_f64 v[2:3], v[2:3], -0.5
	v_fma_f64 v[106:107], v[102:103], 0.5, v[104:105]
	v_mul_f64 v[102:103], v[102:103], s[8:9]
	s_delay_alu instid0(VALU_DEP_4) | instskip(NEXT) | instid1(VALU_DEP_4)
	v_add_f64 v[137:138], v[45:46], v[68:69]
	v_fma_f64 v[2:3], v[0:1], s[8:9], v[2:3]
	v_add_f64 v[0:1], v[45:46], -v[68:69]
	v_add_f64 v[45:46], v[82:83], v[70:71]
	v_add_f64 v[68:69], v[49:50], v[92:93]
	v_fma_f64 v[80:81], v[80:81], 0.5, v[102:103]
	v_add_f64 v[102:103], v[108:109], v[106:107]
	v_add_f64 v[106:107], v[108:109], -v[106:107]
	v_add_f64 v[139:140], v[58:59], v[2:3]
	v_add_f64 v[2:3], v[58:59], -v[2:3]
	v_add_f64 v[58:59], v[82:83], -v[70:71]
	v_fma_f64 v[68:69], v[68:69], -0.5, v[145:146]
	v_fma_f64 v[45:46], v[45:46], -0.5, v[147:148]
	v_add_f64 v[70:71], v[96:97], -v[54:55]
	v_add_f64 v[104:105], v[110:111], v[80:81]
	v_add_f64 v[108:109], v[110:111], -v[80:81]
	v_fma_f64 v[82:83], v[72:73], s[8:9], v[169:170]
	v_fma_f64 v[72:73], v[72:73], s[2:3], v[169:170]
	;; [unrolled: 1-line block ×8, first 2 shown]
	v_mul_f64 v[53:54], v[49:50], s[2:3]
	v_mul_f64 v[68:69], v[45:46], -0.5
	s_delay_alu instid0(VALU_DEP_2) | instskip(SKIP_1) | instid1(VALU_DEP_3)
	v_fma_f64 v[53:54], v[51:52], 0.5, v[53:54]
	v_mul_f64 v[51:52], v[51:52], s[8:9]
	v_fma_f64 v[76:77], v[57:58], s[2:3], v[68:69]
	v_mul_f64 v[57:58], v[57:58], -0.5
	s_delay_alu instid0(VALU_DEP_3)
	v_fma_f64 v[55:56], v[49:50], 0.5, v[51:52]
	v_add_f64 v[49:50], v[80:81], v[53:54]
	v_add_f64 v[53:54], v[80:81], -v[53:54]
	v_add_f64 v[68:69], v[33:34], v[76:77]
	v_add_f64 v[80:81], v[33:34], -v[76:77]
	v_add_f64 v[33:34], v[64:65], v[78:79]
	v_fma_f64 v[45:46], v[45:46], s[8:9], v[57:58]
	v_add_f64 v[57:58], v[47:48], v[177:178]
	v_add_f64 v[47:48], v[47:48], -v[177:178]
	v_add_f64 v[76:77], v[66:67], -v[74:75]
	v_add_f64 v[51:52], v[82:83], v[55:56]
	v_add_f64 v[55:56], v[82:83], -v[55:56]
	v_fma_f64 v[33:34], v[33:34], -0.5, v[173:174]
	v_add_f64 v[70:71], v[72:73], v[45:46]
	v_add_f64 v[82:83], v[72:73], -v[45:46]
	v_add_f64 v[45:46], v[64:65], -v[78:79]
	v_fma_f64 v[57:58], v[57:58], -0.5, v[175:176]
	v_fma_f64 v[78:79], v[76:77], s[2:3], v[21:22]
	v_fma_f64 v[21:22], v[76:77], s[8:9], v[21:22]
	;; [unrolled: 1-line block ×6, first 2 shown]
	s_delay_alu instid0(VALU_DEP_3) | instskip(NEXT) | instid1(VALU_DEP_3)
	v_mul_f64 v[47:48], v[33:34], -0.5
	v_mul_f64 v[72:73], v[64:65], s[2:3]
	s_delay_alu instid0(VALU_DEP_2) | instskip(SKIP_1) | instid1(VALU_DEP_3)
	v_fma_f64 v[47:48], v[45:46], s[2:3], v[47:48]
	v_mul_f64 v[45:46], v[45:46], -0.5
	v_fma_f64 v[72:73], v[66:67], 0.5, v[72:73]
	v_mul_f64 v[66:67], v[66:67], s[8:9]
	s_delay_alu instid0(VALU_DEP_4) | instskip(NEXT) | instid1(VALU_DEP_4)
	v_add_f64 v[76:77], v[21:22], v[47:48]
	v_fma_f64 v[33:34], v[33:34], s[8:9], v[45:46]
	v_add_f64 v[173:174], v[21:22], -v[47:48]
	v_add_f64 v[21:22], v[90:91], v[124:125]
	v_fma_f64 v[74:75], v[64:65], 0.5, v[66:67]
	v_add_f64 v[64:65], v[78:79], v[72:73]
	v_add_f64 v[72:73], v[78:79], -v[72:73]
	v_add_f64 v[45:46], v[86:87], -v[94:95]
	v_add_f64 v[78:79], v[35:36], v[33:34]
	v_add_f64 v[175:176], v[35:36], -v[33:34]
	v_add_f64 v[35:36], v[23:24], v[120:121]
	v_add_f64 v[33:34], v[90:91], -v[124:125]
	v_add_f64 v[23:24], v[23:24], -v[120:121]
	v_fma_f64 v[21:22], v[21:22], -0.5, v[84:85]
	v_add_f64 v[66:67], v[88:89], v[74:75]
	v_add_f64 v[74:75], v[88:89], -v[74:75]
	v_fma_f64 v[90:91], v[19:20], s[8:9], v[165:166]
	v_fma_f64 v[19:20], v[19:20], s[2:3], v[165:166]
	v_fma_f64 v[35:36], v[35:36], -0.5, v[112:113]
	v_fma_f64 v[57:58], v[23:24], s[2:3], v[21:22]
	v_fma_f64 v[21:22], v[23:24], s[8:9], v[21:22]
	s_delay_alu instid0(VALU_DEP_3) | instskip(SKIP_1) | instid1(VALU_DEP_3)
	v_fma_f64 v[47:48], v[33:34], s[8:9], v[35:36]
	v_fma_f64 v[23:24], v[33:34], s[2:3], v[35:36]
	v_mul_f64 v[33:34], v[21:22], -0.5
	s_delay_alu instid0(VALU_DEP_3) | instskip(NEXT) | instid1(VALU_DEP_2)
	v_mul_f64 v[84:85], v[47:48], s[2:3]
	v_fma_f64 v[33:34], v[23:24], s[2:3], v[33:34]
	v_mul_f64 v[23:24], v[23:24], -0.5
	s_delay_alu instid0(VALU_DEP_3) | instskip(SKIP_1) | instid1(VALU_DEP_3)
	v_fma_f64 v[88:89], v[57:58], 0.5, v[84:85]
	v_mul_f64 v[57:58], v[57:58], s[8:9]
	v_fma_f64 v[21:22], v[21:22], s[8:9], v[23:24]
	s_delay_alu instid0(VALU_DEP_2) | instskip(SKIP_2) | instid1(VALU_DEP_4)
	v_fma_f64 v[47:48], v[47:48], 0.5, v[57:58]
	v_fma_f64 v[57:58], v[45:46], s[2:3], v[13:14]
	v_fma_f64 v[13:14], v[45:46], s[8:9], v[13:14]
	v_add_f64 v[94:95], v[19:20], v[21:22]
	v_add_f64 v[112:113], v[19:20], -v[21:22]
	v_add_f64 v[86:87], v[90:91], v[47:48]
	v_add_f64 v[84:85], v[57:58], v[88:89]
	;; [unrolled: 1-line block ×3, first 2 shown]
	v_add_f64 v[88:89], v[57:58], -v[88:89]
	v_add_f64 v[90:91], v[90:91], -v[47:48]
	;; [unrolled: 1-line block ×3, first 2 shown]
	ds_store_b128 v8, v[60:63]
	ds_store_b128 v8, v[129:132] offset:25920
	ds_store_b128 v8, v[41:44] offset:1728
	;; [unrolled: 1-line block ×29, first 2 shown]
	s_waitcnt lgkmcnt(0)
	s_waitcnt_vscnt null, 0x0
	s_barrier
	buffer_gl0_inv
	scratch_load_b64 v[0:1], off, off offset:1564 ; 8-byte Folded Reload
	v_add_co_u32 v113, vcc_lo, 0x10000, v128
	v_add_co_ci_u32_e32 v114, vcc_lo, 0, v186, vcc_lo
	v_add_co_u32 v37, vcc_lo, 0x15000, v128
	v_add_co_ci_u32_e32 v38, vcc_lo, 0, v186, vcc_lo
	;; [unrolled: 2-line block ×4, first 2 shown]
	s_waitcnt vmcnt(0)
	global_load_b128 v[4:7], v[0:1], off offset:2688
	ds_load_b128 v[0:3], v8
	s_waitcnt vmcnt(0) lgkmcnt(0)
	v_mul_f64 v[9:10], v[2:3], v[6:7]
	v_mul_f64 v[6:7], v[0:1], v[6:7]
	s_delay_alu instid0(VALU_DEP_2) | instskip(NEXT) | instid1(VALU_DEP_2)
	v_fma_f64 v[0:1], v[0:1], v[4:5], -v[9:10]
	v_fma_f64 v[2:3], v[2:3], v[4:5], v[6:7]
	global_load_b128 v[4:7], v[113:114], off offset:3584
	ds_load_b128 v[9:12], v8 offset:17280
	s_waitcnt vmcnt(0) lgkmcnt(0)
	v_mul_f64 v[13:14], v[11:12], v[6:7]
	v_mul_f64 v[6:7], v[9:10], v[6:7]
	s_delay_alu instid0(VALU_DEP_2) | instskip(NEXT) | instid1(VALU_DEP_2)
	v_fma_f64 v[9:10], v[9:10], v[4:5], -v[13:14]
	v_fma_f64 v[11:12], v[11:12], v[4:5], v[6:7]
	global_load_b128 v[4:7], v[37:38], off offset:384
	ds_load_b128 v[13:16], v8 offset:34560
	;; [unrolled: 8-line block ×8, first 2 shown]
	s_waitcnt vmcnt(0) lgkmcnt(0)
	v_mul_f64 v[41:42], v[39:40], v[6:7]
	v_mul_f64 v[6:7], v[37:38], v[6:7]
	s_delay_alu instid0(VALU_DEP_2) | instskip(NEXT) | instid1(VALU_DEP_2)
	v_fma_f64 v[37:38], v[37:38], v[4:5], -v[41:42]
	v_fma_f64 v[39:40], v[39:40], v[4:5], v[6:7]
	v_add_co_u32 v4, vcc_lo, 0xd000, v128
	v_add_co_ci_u32_e32 v5, vcc_lo, 0, v186, vcc_lo
	ds_load_b128 v[41:44], v8 offset:5184
	v_add_co_u32 v69, vcc_lo, 0x12000, v128
	global_load_b128 v[4:7], v[4:5], off offset:3776
	v_add_co_ci_u32_e32 v70, vcc_lo, 0, v186, vcc_lo
	v_add_co_u32 v61, vcc_lo, 0x16000, v128
	v_add_co_ci_u32_e32 v62, vcc_lo, 0, v186, vcc_lo
	v_add_co_u32 v65, vcc_lo, 0xe000, v128
	;; [unrolled: 2-line block ×7, first 2 shown]
	v_add_co_ci_u32_e32 v118, vcc_lo, 0, v186, vcc_lo
	s_waitcnt vmcnt(0) lgkmcnt(0)
	v_mul_f64 v[45:46], v[43:44], v[6:7]
	v_mul_f64 v[6:7], v[41:42], v[6:7]
	s_delay_alu instid0(VALU_DEP_2) | instskip(NEXT) | instid1(VALU_DEP_2)
	v_fma_f64 v[41:42], v[41:42], v[4:5], -v[45:46]
	v_fma_f64 v[43:44], v[43:44], v[4:5], v[6:7]
	global_load_b128 v[4:7], v[69:70], off offset:576
	ds_load_b128 v[45:48], v8 offset:22464
	s_waitcnt vmcnt(0) lgkmcnt(0)
	v_mul_f64 v[49:50], v[47:48], v[6:7]
	v_mul_f64 v[6:7], v[45:46], v[6:7]
	s_delay_alu instid0(VALU_DEP_2) | instskip(NEXT) | instid1(VALU_DEP_2)
	v_fma_f64 v[45:46], v[45:46], v[4:5], -v[49:50]
	v_fma_f64 v[47:48], v[47:48], v[4:5], v[6:7]
	global_load_b128 v[4:7], v[61:62], off offset:1472
	ds_load_b128 v[49:52], v8 offset:39744
	s_waitcnt vmcnt(0) lgkmcnt(0)
	v_mul_f64 v[53:54], v[51:52], v[6:7]
	v_mul_f64 v[6:7], v[49:50], v[6:7]
	s_delay_alu instid0(VALU_DEP_2) | instskip(NEXT) | instid1(VALU_DEP_2)
	v_fma_f64 v[49:50], v[49:50], v[4:5], -v[53:54]
	v_fma_f64 v[51:52], v[51:52], v[4:5], v[6:7]
	global_load_b128 v[4:7], v[65:66], off offset:1408
	ds_load_b128 v[53:56], v8 offset:6912
	s_waitcnt vmcnt(0) lgkmcnt(0)
	v_mul_f64 v[57:58], v[55:56], v[6:7]
	v_mul_f64 v[6:7], v[53:54], v[6:7]
	s_delay_alu instid0(VALU_DEP_2) | instskip(NEXT) | instid1(VALU_DEP_2)
	v_fma_f64 v[53:54], v[53:54], v[4:5], -v[57:58]
	v_fma_f64 v[55:56], v[55:56], v[4:5], v[6:7]
	global_load_b128 v[4:7], v[69:70], off offset:2304
	ds_load_b128 v[57:60], v8 offset:24192
	s_waitcnt vmcnt(0) lgkmcnt(0)
	v_mul_f64 v[63:64], v[59:60], v[6:7]
	v_mul_f64 v[6:7], v[57:58], v[6:7]
	s_delay_alu instid0(VALU_DEP_2) | instskip(NEXT) | instid1(VALU_DEP_2)
	v_fma_f64 v[57:58], v[57:58], v[4:5], -v[63:64]
	v_fma_f64 v[59:60], v[59:60], v[4:5], v[6:7]
	global_load_b128 v[4:7], v[61:62], off offset:3200
	ds_load_b128 v[61:64], v8 offset:41472
	s_waitcnt vmcnt(0) lgkmcnt(0)
	v_mul_f64 v[67:68], v[63:64], v[6:7]
	v_mul_f64 v[6:7], v[61:62], v[6:7]
	s_delay_alu instid0(VALU_DEP_2) | instskip(NEXT) | instid1(VALU_DEP_2)
	v_fma_f64 v[61:62], v[61:62], v[4:5], -v[67:68]
	v_fma_f64 v[63:64], v[63:64], v[4:5], v[6:7]
	global_load_b128 v[4:7], v[65:66], off offset:3136
	ds_load_b128 v[65:68], v8 offset:8640
	s_waitcnt vmcnt(0) lgkmcnt(0)
	v_mul_f64 v[71:72], v[67:68], v[6:7]
	v_mul_f64 v[6:7], v[65:66], v[6:7]
	s_delay_alu instid0(VALU_DEP_2) | instskip(NEXT) | instid1(VALU_DEP_2)
	v_fma_f64 v[65:66], v[65:66], v[4:5], -v[71:72]
	v_fma_f64 v[67:68], v[67:68], v[4:5], v[6:7]
	global_load_b128 v[4:7], v[69:70], off offset:4032
	ds_load_b128 v[69:72], v8 offset:25920
	s_waitcnt vmcnt(0) lgkmcnt(0)
	v_mul_f64 v[73:74], v[71:72], v[6:7]
	v_mul_f64 v[6:7], v[69:70], v[6:7]
	s_delay_alu instid0(VALU_DEP_2) | instskip(NEXT) | instid1(VALU_DEP_2)
	v_fma_f64 v[69:70], v[69:70], v[4:5], -v[73:74]
	v_fma_f64 v[71:72], v[71:72], v[4:5], v[6:7]
	global_load_b128 v[4:7], v[85:86], off offset:832
	ds_load_b128 v[73:76], v8 offset:43200
	s_waitcnt vmcnt(0) lgkmcnt(0)
	v_mul_f64 v[77:78], v[75:76], v[6:7]
	v_mul_f64 v[6:7], v[73:74], v[6:7]
	s_delay_alu instid0(VALU_DEP_2) | instskip(NEXT) | instid1(VALU_DEP_2)
	v_fma_f64 v[73:74], v[73:74], v[4:5], -v[77:78]
	v_fma_f64 v[75:76], v[75:76], v[4:5], v[6:7]
	global_load_b128 v[4:7], v[89:90], off offset:768
	ds_load_b128 v[77:80], v8 offset:10368
	s_waitcnt vmcnt(0) lgkmcnt(0)
	v_mul_f64 v[81:82], v[79:80], v[6:7]
	v_mul_f64 v[6:7], v[77:78], v[6:7]
	s_delay_alu instid0(VALU_DEP_2) | instskip(NEXT) | instid1(VALU_DEP_2)
	v_fma_f64 v[77:78], v[77:78], v[4:5], -v[81:82]
	v_fma_f64 v[79:80], v[79:80], v[4:5], v[6:7]
	global_load_b128 v[4:7], v[93:94], off offset:1664
	ds_load_b128 v[81:84], v8 offset:27648
	s_waitcnt vmcnt(0) lgkmcnt(0)
	v_mul_f64 v[87:88], v[83:84], v[6:7]
	v_mul_f64 v[6:7], v[81:82], v[6:7]
	s_delay_alu instid0(VALU_DEP_2) | instskip(NEXT) | instid1(VALU_DEP_2)
	v_fma_f64 v[81:82], v[81:82], v[4:5], -v[87:88]
	v_fma_f64 v[83:84], v[83:84], v[4:5], v[6:7]
	global_load_b128 v[4:7], v[85:86], off offset:2560
	ds_load_b128 v[85:88], v8 offset:44928
	s_waitcnt vmcnt(0) lgkmcnt(0)
	v_mul_f64 v[91:92], v[87:88], v[6:7]
	v_mul_f64 v[6:7], v[85:86], v[6:7]
	s_delay_alu instid0(VALU_DEP_2) | instskip(NEXT) | instid1(VALU_DEP_2)
	v_fma_f64 v[85:86], v[85:86], v[4:5], -v[91:92]
	v_fma_f64 v[87:88], v[87:88], v[4:5], v[6:7]
	global_load_b128 v[4:7], v[89:90], off offset:2496
	ds_load_b128 v[89:92], v8 offset:12096
	s_waitcnt vmcnt(0) lgkmcnt(0)
	v_mul_f64 v[95:96], v[91:92], v[6:7]
	v_mul_f64 v[6:7], v[89:90], v[6:7]
	s_delay_alu instid0(VALU_DEP_2) | instskip(NEXT) | instid1(VALU_DEP_2)
	v_fma_f64 v[89:90], v[89:90], v[4:5], -v[95:96]
	v_fma_f64 v[91:92], v[91:92], v[4:5], v[6:7]
	global_load_b128 v[4:7], v[93:94], off offset:3392
	ds_load_b128 v[93:96], v8 offset:29376
	s_waitcnt vmcnt(0) lgkmcnt(0)
	v_mul_f64 v[97:98], v[95:96], v[6:7]
	v_mul_f64 v[6:7], v[93:94], v[6:7]
	s_delay_alu instid0(VALU_DEP_2) | instskip(NEXT) | instid1(VALU_DEP_2)
	v_fma_f64 v[93:94], v[93:94], v[4:5], -v[97:98]
	v_fma_f64 v[95:96], v[95:96], v[4:5], v[6:7]
	global_load_b128 v[4:7], v[121:122], off offset:192
	ds_load_b128 v[97:100], v8 offset:46656
	s_waitcnt vmcnt(0) lgkmcnt(0)
	v_mul_f64 v[101:102], v[99:100], v[6:7]
	v_mul_f64 v[6:7], v[97:98], v[6:7]
	s_delay_alu instid0(VALU_DEP_2) | instskip(NEXT) | instid1(VALU_DEP_2)
	v_fma_f64 v[97:98], v[97:98], v[4:5], -v[101:102]
	v_fma_f64 v[99:100], v[99:100], v[4:5], v[6:7]
	global_load_b128 v[4:7], v[113:114], off offset:128
	ds_load_b128 v[101:104], v8 offset:13824
	s_waitcnt vmcnt(0) lgkmcnt(0)
	v_mul_f64 v[105:106], v[103:104], v[6:7]
	v_mul_f64 v[6:7], v[101:102], v[6:7]
	s_delay_alu instid0(VALU_DEP_2) | instskip(NEXT) | instid1(VALU_DEP_2)
	v_fma_f64 v[101:102], v[101:102], v[4:5], -v[105:106]
	v_fma_f64 v[103:104], v[103:104], v[4:5], v[6:7]
	global_load_b128 v[4:7], v[117:118], off offset:1024
	ds_load_b128 v[105:108], v8 offset:31104
	s_waitcnt vmcnt(0) lgkmcnt(0)
	v_mul_f64 v[109:110], v[107:108], v[6:7]
	v_mul_f64 v[6:7], v[105:106], v[6:7]
	s_delay_alu instid0(VALU_DEP_2) | instskip(NEXT) | instid1(VALU_DEP_2)
	v_fma_f64 v[105:106], v[105:106], v[4:5], -v[109:110]
	v_fma_f64 v[107:108], v[107:108], v[4:5], v[6:7]
	global_load_b128 v[4:7], v[121:122], off offset:1920
	ds_load_b128 v[109:112], v8 offset:48384
	s_waitcnt vmcnt(0) lgkmcnt(0)
	v_mul_f64 v[115:116], v[111:112], v[6:7]
	v_mul_f64 v[6:7], v[109:110], v[6:7]
	s_delay_alu instid0(VALU_DEP_2) | instskip(NEXT) | instid1(VALU_DEP_2)
	v_fma_f64 v[109:110], v[109:110], v[4:5], -v[115:116]
	v_fma_f64 v[111:112], v[111:112], v[4:5], v[6:7]
	global_load_b128 v[4:7], v[113:114], off offset:1856
	ds_load_b128 v[113:116], v8 offset:15552
	s_waitcnt vmcnt(0) lgkmcnt(0)
	v_mul_f64 v[119:120], v[115:116], v[6:7]
	v_mul_f64 v[6:7], v[113:114], v[6:7]
	s_delay_alu instid0(VALU_DEP_2) | instskip(NEXT) | instid1(VALU_DEP_2)
	v_fma_f64 v[113:114], v[113:114], v[4:5], -v[119:120]
	v_fma_f64 v[115:116], v[115:116], v[4:5], v[6:7]
	global_load_b128 v[4:7], v[117:118], off offset:2752
	ds_load_b128 v[117:120], v8 offset:32832
	s_waitcnt vmcnt(0) lgkmcnt(0)
	v_mul_f64 v[123:124], v[119:120], v[6:7]
	v_mul_f64 v[6:7], v[117:118], v[6:7]
	s_delay_alu instid0(VALU_DEP_2) | instskip(NEXT) | instid1(VALU_DEP_2)
	v_fma_f64 v[117:118], v[117:118], v[4:5], -v[123:124]
	v_fma_f64 v[119:120], v[119:120], v[4:5], v[6:7]
	global_load_b128 v[4:7], v[121:122], off offset:3648
	ds_load_b128 v[121:124], v8 offset:50112
	s_waitcnt vmcnt(0) lgkmcnt(0)
	v_mul_f64 v[125:126], v[123:124], v[6:7]
	v_mul_f64 v[6:7], v[121:122], v[6:7]
	s_delay_alu instid0(VALU_DEP_2) | instskip(NEXT) | instid1(VALU_DEP_2)
	v_fma_f64 v[121:122], v[121:122], v[4:5], -v[125:126]
	v_fma_f64 v[123:124], v[123:124], v[4:5], v[6:7]
	ds_store_b128 v8, v[0:3]
	ds_store_b128 v8, v[9:12] offset:17280
	ds_store_b128 v8, v[13:16] offset:34560
	ds_store_b128 v8, v[17:20] offset:1728
	ds_store_b128 v8, v[21:24] offset:19008
	ds_store_b128 v8, v[25:28] offset:36288
	ds_store_b128 v8, v[29:32] offset:3456
	ds_store_b128 v8, v[33:36] offset:20736
	ds_store_b128 v8, v[37:40] offset:38016
	ds_store_b128 v8, v[41:44] offset:5184
	ds_store_b128 v8, v[45:48] offset:22464
	ds_store_b128 v8, v[49:52] offset:39744
	ds_store_b128 v8, v[53:56] offset:6912
	ds_store_b128 v8, v[57:60] offset:24192
	ds_store_b128 v8, v[61:64] offset:41472
	ds_store_b128 v8, v[65:68] offset:8640
	ds_store_b128 v8, v[69:72] offset:25920
	ds_store_b128 v8, v[73:76] offset:43200
	ds_store_b128 v8, v[77:80] offset:10368
	ds_store_b128 v8, v[81:84] offset:27648
	ds_store_b128 v8, v[85:88] offset:44928
	ds_store_b128 v8, v[89:92] offset:12096
	ds_store_b128 v8, v[93:96] offset:29376
	ds_store_b128 v8, v[97:100] offset:46656
	ds_store_b128 v8, v[101:104] offset:13824
	ds_store_b128 v8, v[105:108] offset:31104
	ds_store_b128 v8, v[109:112] offset:48384
	ds_store_b128 v8, v[113:116] offset:15552
	ds_store_b128 v8, v[117:120] offset:32832
	ds_store_b128 v8, v[121:124] offset:50112
	s_waitcnt lgkmcnt(0)
	s_barrier
	buffer_gl0_inv
	ds_load_b128 v[0:3], v8
	ds_load_b128 v[4:7], v8 offset:17280
	ds_load_b128 v[9:12], v8 offset:34560
	s_waitcnt lgkmcnt(1)
	v_add_f64 v[13:14], v[0:1], v[4:5]
	v_add_f64 v[15:16], v[2:3], v[6:7]
	s_waitcnt lgkmcnt(0)
	v_add_f64 v[149:150], v[4:5], v[9:10]
	v_add_f64 v[163:164], v[6:7], -v[11:12]
	v_add_f64 v[89:90], v[6:7], v[11:12]
	v_add_f64 v[91:92], v[4:5], -v[9:10]
	v_add_f64 v[4:5], v[13:14], v[9:10]
	v_add_f64 v[6:7], v[15:16], v[11:12]
	ds_load_b128 v[9:12], v8 offset:19008
	ds_load_b128 v[13:16], v8 offset:1728
	;; [unrolled: 1-line block ×3, first 2 shown]
	s_waitcnt lgkmcnt(1)
	v_add_f64 v[21:22], v[13:14], v[9:10]
	v_add_f64 v[23:24], v[15:16], v[11:12]
	s_waitcnt lgkmcnt(0)
	v_add_f64 v[93:94], v[9:10], v[17:18]
	v_add_f64 v[95:96], v[11:12], -v[19:20]
	v_add_f64 v[97:98], v[11:12], v[19:20]
	v_add_f64 v[99:100], v[9:10], -v[17:18]
	v_fma_f64 v[11:12], v[149:150], -0.5, v[0:1]
	v_add_f64 v[85:86], v[21:22], v[17:18]
	v_add_f64 v[87:88], v[23:24], v[19:20]
	ds_load_b128 v[17:20], v8 offset:3456
	ds_load_b128 v[21:24], v8 offset:20736
	ds_load_b128 v[25:28], v8 offset:38016
	v_fma_f64 v[0:1], v[163:164], s[8:9], v[11:12]
	s_waitcnt lgkmcnt(1)
	v_add_f64 v[29:30], v[17:18], v[21:22]
	v_add_f64 v[31:32], v[19:20], v[23:24]
	s_waitcnt lgkmcnt(0)
	v_add_f64 v[101:102], v[21:22], v[25:26]
	v_add_f64 v[103:104], v[23:24], -v[27:28]
	v_add_f64 v[105:106], v[23:24], v[27:28]
	v_add_f64 v[107:108], v[21:22], -v[25:26]
	v_add_f64 v[21:22], v[29:30], v[25:26]
	v_add_f64 v[23:24], v[31:32], v[27:28]
	ds_load_b128 v[25:28], v8 offset:22464
	ds_load_b128 v[29:32], v8 offset:5184
	ds_load_b128 v[33:36], v8 offset:39744
	s_waitcnt lgkmcnt(1)
	v_add_f64 v[37:38], v[29:30], v[25:26]
	v_add_f64 v[39:40], v[31:32], v[27:28]
	s_waitcnt lgkmcnt(0)
	v_add_f64 v[109:110], v[25:26], v[33:34]
	v_add_f64 v[111:112], v[27:28], -v[35:36]
	v_add_f64 v[113:114], v[27:28], v[35:36]
	v_add_f64 v[115:116], v[25:26], -v[33:34]
	v_add_f64 v[25:26], v[37:38], v[33:34]
	v_add_f64 v[27:28], v[39:40], v[35:36]
	ds_load_b128 v[33:36], v8 offset:6912
	ds_load_b128 v[37:40], v8 offset:24192
	ds_load_b128 v[41:44], v8 offset:41472
	s_waitcnt lgkmcnt(1)
	v_add_f64 v[45:46], v[33:34], v[37:38]
	v_add_f64 v[47:48], v[35:36], v[39:40]
	s_waitcnt lgkmcnt(0)
	v_add_f64 v[117:118], v[37:38], v[41:42]
	v_add_f64 v[119:120], v[39:40], -v[43:44]
	v_add_f64 v[121:122], v[39:40], v[43:44]
	v_add_f64 v[123:124], v[37:38], -v[41:42]
	v_add_f64 v[37:38], v[45:46], v[41:42]
	v_add_f64 v[39:40], v[47:48], v[43:44]
	ds_load_b128 v[41:44], v8 offset:25920
	ds_load_b128 v[45:48], v8 offset:8640
	ds_load_b128 v[49:52], v8 offset:43200
	s_waitcnt lgkmcnt(1)
	v_add_f64 v[53:54], v[45:46], v[41:42]
	v_add_f64 v[55:56], v[47:48], v[43:44]
	s_waitcnt lgkmcnt(0)
	v_add_f64 v[125:126], v[41:42], v[49:50]
	v_add_f64 v[127:128], v[43:44], -v[51:52]
	v_add_f64 v[129:130], v[43:44], v[51:52]
	v_add_f64 v[131:132], v[41:42], -v[49:50]
	v_add_f64 v[41:42], v[53:54], v[49:50]
	v_add_f64 v[43:44], v[55:56], v[51:52]
	ds_load_b128 v[49:52], v8 offset:10368
	ds_load_b128 v[53:56], v8 offset:27648
	ds_load_b128 v[57:60], v8 offset:44928
	s_waitcnt lgkmcnt(1)
	v_add_f64 v[61:62], v[49:50], v[53:54]
	v_add_f64 v[63:64], v[51:52], v[55:56]
	s_waitcnt lgkmcnt(0)
	v_add_f64 v[133:134], v[53:54], v[57:58]
	v_add_f64 v[135:136], v[55:56], -v[59:60]
	v_add_f64 v[137:138], v[55:56], v[59:60]
	v_add_f64 v[139:140], v[53:54], -v[57:58]
	v_add_f64 v[53:54], v[61:62], v[57:58]
	v_add_f64 v[55:56], v[63:64], v[59:60]
	ds_load_b128 v[57:60], v8 offset:29376
	ds_load_b128 v[61:64], v8 offset:12096
	ds_load_b128 v[65:68], v8 offset:46656
	s_waitcnt lgkmcnt(1)
	v_add_f64 v[69:70], v[61:62], v[57:58]
	v_add_f64 v[71:72], v[63:64], v[59:60]
	s_waitcnt lgkmcnt(0)
	v_add_f64 v[141:142], v[57:58], v[65:66]
	v_add_f64 v[143:144], v[59:60], -v[67:68]
	v_add_f64 v[145:146], v[59:60], v[67:68]
	v_add_f64 v[147:148], v[57:58], -v[65:66]
	v_add_f64 v[57:58], v[69:70], v[65:66]
	v_add_f64 v[59:60], v[71:72], v[67:68]
	ds_load_b128 v[65:68], v8 offset:13824
	ds_load_b128 v[69:72], v8 offset:31104
	ds_load_b128 v[73:76], v8 offset:48384
	s_waitcnt lgkmcnt(1)
	v_add_f64 v[77:78], v[65:66], v[69:70]
	v_add_f64 v[79:80], v[67:68], v[71:72]
	s_waitcnt lgkmcnt(0)
	v_add_f64 v[165:166], v[69:70], v[73:74]
	v_add_f64 v[167:168], v[71:72], -v[75:76]
	v_add_f64 v[169:170], v[71:72], v[75:76]
	v_add_f64 v[171:172], v[69:70], -v[73:74]
	v_add_f64 v[69:70], v[77:78], v[73:74]
	v_add_f64 v[71:72], v[79:80], v[75:76]
	ds_load_b128 v[73:76], v8 offset:15552
	ds_load_b128 v[77:80], v8 offset:32832
	ds_load_b128 v[81:84], v8 offset:50112
	s_waitcnt lgkmcnt(0)
	s_barrier
	buffer_gl0_inv
	v_add_f64 v[173:174], v[73:74], v[77:78]
	v_add_f64 v[177:178], v[77:78], v[81:82]
	v_add_f64 v[9:10], v[77:78], -v[81:82]
	v_add_f64 v[175:176], v[75:76], v[79:80]
	v_add_f64 v[179:180], v[79:80], -v[83:84]
	v_add_f64 v[181:182], v[79:80], v[83:84]
	v_add_f64 v[77:78], v[173:174], v[81:82]
	v_fma_f64 v[81:82], v[163:164], s[2:3], v[11:12]
	scratch_load_b32 v11, off, off offset:836 ; 4-byte Folded Reload
	v_add_f64 v[79:80], v[175:176], v[83:84]
	v_fma_f64 v[83:84], v[89:90], -0.5, v[2:3]
	s_delay_alu instid0(VALU_DEP_1)
	v_fma_f64 v[2:3], v[91:92], s[2:3], v[83:84]
	v_fma_f64 v[83:84], v[91:92], s[8:9], v[83:84]
	s_waitcnt vmcnt(0)
	ds_store_b128 v11, v[4:7]
	ds_store_b128 v11, v[0:3] offset:16
	ds_store_b128 v11, v[81:84] offset:32
	scratch_load_b32 v11, off, off offset:920 ; 4-byte Folded Reload
	v_fma_f64 v[2:3], v[93:94], -0.5, v[13:14]
	v_fma_f64 v[6:7], v[97:98], -0.5, v[15:16]
	s_delay_alu instid0(VALU_DEP_2) | instskip(SKIP_1) | instid1(VALU_DEP_3)
	v_fma_f64 v[0:1], v[95:96], s[8:9], v[2:3]
	v_fma_f64 v[4:5], v[95:96], s[2:3], v[2:3]
	v_fma_f64 v[2:3], v[99:100], s[2:3], v[6:7]
	v_fma_f64 v[6:7], v[99:100], s[8:9], v[6:7]
	s_waitcnt vmcnt(0)
	ds_store_b128 v11, v[85:88]
	ds_store_b128 v11, v[0:3] offset:16
	ds_store_b128 v11, v[4:7] offset:32
	scratch_load_b32 v11, off, off offset:944 ; 4-byte Folded Reload
	v_fma_f64 v[2:3], v[101:102], -0.5, v[17:18]
	v_fma_f64 v[6:7], v[105:106], -0.5, v[19:20]
	s_delay_alu instid0(VALU_DEP_2) | instskip(SKIP_1) | instid1(VALU_DEP_3)
	v_fma_f64 v[0:1], v[103:104], s[8:9], v[2:3]
	v_fma_f64 v[4:5], v[103:104], s[2:3], v[2:3]
	;; [unrolled: 12-line block ×8, first 2 shown]
	v_fma_f64 v[2:3], v[171:172], s[2:3], v[6:7]
	v_fma_f64 v[6:7], v[171:172], s[8:9], v[6:7]
	s_waitcnt vmcnt(0)
	ds_store_b128 v11, v[69:72]
	ds_store_b128 v11, v[0:3] offset:16
	ds_store_b128 v11, v[4:7] offset:32
	v_fma_f64 v[2:3], v[177:178], -0.5, v[73:74]
	v_fma_f64 v[6:7], v[181:182], -0.5, v[75:76]
	s_delay_alu instid0(VALU_DEP_2) | instskip(SKIP_1) | instid1(VALU_DEP_3)
	v_fma_f64 v[0:1], v[179:180], s[8:9], v[2:3]
	v_fma_f64 v[4:5], v[179:180], s[2:3], v[2:3]
	;; [unrolled: 1-line block ×4, first 2 shown]
	scratch_load_b32 v9, off, off offset:748 ; 4-byte Folded Reload
	s_waitcnt vmcnt(0)
	ds_store_b128 v9, v[77:80]
	ds_store_b128 v9, v[0:3] offset:16
	ds_store_b128 v9, v[4:7] offset:32
	s_waitcnt lgkmcnt(0)
	s_barrier
	buffer_gl0_inv
	s_clause 0x1
	scratch_load_b128 v[9:12], off, off offset:492
	scratch_load_b128 v[18:21], off, off offset:768
	ds_load_b128 v[0:3], v8 offset:17280
	scratch_load_b128 v[30:33], off, off offset:812 ; 16-byte Folded Reload
	s_waitcnt vmcnt(2) lgkmcnt(0)
	v_mul_f64 v[4:5], v[11:12], v[2:3]
	s_delay_alu instid0(VALU_DEP_1) | instskip(SKIP_1) | instid1(VALU_DEP_1)
	v_fma_f64 v[22:23], v[9:10], v[0:1], v[4:5]
	v_mul_f64 v[0:1], v[11:12], v[0:1]
	v_fma_f64 v[24:25], v[9:10], v[2:3], -v[0:1]
	scratch_load_b128 v[9:12], off, off offset:508 ; 16-byte Folded Reload
	ds_load_b128 v[0:3], v8 offset:34560
	s_waitcnt vmcnt(0) lgkmcnt(0)
	v_mul_f64 v[4:5], v[11:12], v[2:3]
	s_delay_alu instid0(VALU_DEP_1) | instskip(SKIP_1) | instid1(VALU_DEP_1)
	v_fma_f64 v[26:27], v[9:10], v[0:1], v[4:5]
	v_mul_f64 v[0:1], v[11:12], v[0:1]
	v_fma_f64 v[28:29], v[9:10], v[2:3], -v[0:1]
	scratch_load_b128 v[9:12], off, off offset:524 ; 16-byte Folded Reload
	ds_load_b128 v[0:3], v8 offset:19008
	;; [unrolled: 8-line block ×16, first 2 shown]
	s_waitcnt vmcnt(0) lgkmcnt(0)
	v_mul_f64 v[4:5], v[11:12], v[2:3]
	s_delay_alu instid0(VALU_DEP_1) | instskip(SKIP_1) | instid1(VALU_DEP_1)
	v_fma_f64 v[16:17], v[9:10], v[0:1], v[4:5]
	v_mul_f64 v[0:1], v[11:12], v[0:1]
	v_fma_f64 v[10:11], v[9:10], v[2:3], -v[0:1]
	ds_load_b128 v[0:3], v8 offset:48384
	s_waitcnt lgkmcnt(0)
	v_mul_f64 v[4:5], v[20:21], v[2:3]
	s_delay_alu instid0(VALU_DEP_1) | instskip(SKIP_1) | instid1(VALU_DEP_1)
	v_fma_f64 v[12:13], v[18:19], v[0:1], v[4:5]
	v_mul_f64 v[0:1], v[20:21], v[0:1]
	v_fma_f64 v[14:15], v[18:19], v[2:3], -v[0:1]
	scratch_load_b128 v[18:21], off, off offset:796 ; 16-byte Folded Reload
	ds_load_b128 v[2:5], v8 offset:32832
	s_waitcnt vmcnt(0) lgkmcnt(0)
	v_mul_f64 v[0:1], v[20:21], v[4:5]
	s_delay_alu instid0(VALU_DEP_1) | instskip(SKIP_1) | instid1(VALU_DEP_1)
	v_fma_f64 v[0:1], v[18:19], v[2:3], v[0:1]
	v_mul_f64 v[2:3], v[20:21], v[2:3]
	v_fma_f64 v[2:3], v[18:19], v[4:5], -v[2:3]
	ds_load_b128 v[18:21], v8 offset:50112
	s_waitcnt lgkmcnt(0)
	v_mul_f64 v[4:5], v[32:33], v[20:21]
	v_mul_f64 v[6:7], v[32:33], v[18:19]
	v_add_f64 v[32:33], v[24:25], v[28:29]
	s_delay_alu instid0(VALU_DEP_3) | instskip(NEXT) | instid1(VALU_DEP_3)
	v_fma_f64 v[4:5], v[30:31], v[18:19], v[4:5]
	v_fma_f64 v[6:7], v[30:31], v[20:21], -v[6:7]
	ds_load_b128 v[18:21], v8
	v_add_f64 v[30:31], v[22:23], v[26:27]
	s_waitcnt lgkmcnt(0)
	v_fma_f64 v[32:33], v[32:33], -0.5, v[20:21]
	v_add_f64 v[20:21], v[20:21], v[24:25]
	v_add_f64 v[24:25], v[24:25], -v[28:29]
	s_delay_alu instid0(VALU_DEP_4) | instskip(SKIP_1) | instid1(VALU_DEP_4)
	v_fma_f64 v[30:31], v[30:31], -0.5, v[18:19]
	v_add_f64 v[18:19], v[18:19], v[22:23]
	v_add_f64 v[20:21], v[20:21], v[28:29]
	v_add_f64 v[28:29], v[22:23], -v[26:27]
	s_delay_alu instid0(VALU_DEP_4) | instskip(NEXT) | instid1(VALU_DEP_4)
	v_fma_f64 v[22:23], v[24:25], s[8:9], v[30:31]
	v_add_f64 v[18:19], v[18:19], v[26:27]
	v_fma_f64 v[26:27], v[24:25], s[2:3], v[30:31]
	s_delay_alu instid0(VALU_DEP_4)
	v_fma_f64 v[24:25], v[28:29], s[2:3], v[32:33]
	v_fma_f64 v[28:29], v[28:29], s[8:9], v[32:33]
	ds_load_b128 v[30:33], v8 offset:15552
	ds_load_b128 v[34:37], v8 offset:1728
	ds_load_b128 v[38:41], v8 offset:3456
	ds_load_b128 v[42:45], v8 offset:5184
	ds_load_b128 v[46:49], v8 offset:6912
	ds_load_b128 v[50:53], v8 offset:8640
	ds_load_b128 v[54:57], v8 offset:10368
	ds_load_b128 v[58:61], v8 offset:12096
	ds_load_b128 v[62:65], v8 offset:13824
	s_waitcnt lgkmcnt(0)
	s_barrier
	buffer_gl0_inv
	scratch_load_b32 v9, off, off offset:1012 ; 4-byte Folded Reload
	s_waitcnt vmcnt(0)
	ds_store_b128 v9, v[18:21]
	ds_store_b128 v9, v[22:25] offset:48
	ds_store_b128 v9, v[26:29] offset:96
	scratch_load_b32 v9, off, off offset:940 ; 4-byte Folded Reload
	v_add_f64 v[18:19], v[66:67], v[70:71]
	v_add_f64 v[22:23], v[34:35], v[66:67]
	v_add_f64 v[26:27], v[68:69], -v[72:73]
	s_delay_alu instid0(VALU_DEP_3) | instskip(SKIP_2) | instid1(VALU_DEP_2)
	v_fma_f64 v[24:25], v[18:19], -0.5, v[34:35]
	v_add_f64 v[18:19], v[68:69], v[72:73]
	v_add_f64 v[34:35], v[66:67], -v[70:71]
	v_fma_f64 v[28:29], v[18:19], -0.5, v[36:37]
	v_add_f64 v[18:19], v[36:37], v[68:69]
	s_delay_alu instid0(VALU_DEP_1)
	v_add_f64 v[20:21], v[18:19], v[72:73]
	v_add_f64 v[18:19], v[22:23], v[70:71]
	v_fma_f64 v[22:23], v[26:27], s[8:9], v[24:25]
	v_fma_f64 v[26:27], v[26:27], s[2:3], v[24:25]
	v_fma_f64 v[24:25], v[34:35], s[2:3], v[28:29]
	v_fma_f64 v[28:29], v[34:35], s[8:9], v[28:29]
	s_waitcnt vmcnt(0)
	ds_store_b128 v9, v[18:21]
	ds_store_b128 v9, v[22:25] offset:48
	ds_store_b128 v9, v[26:29] offset:96
	scratch_load_b32 v9, off, off offset:936 ; 4-byte Folded Reload
	v_add_f64 v[18:19], v[74:75], v[78:79]
	v_add_f64 v[22:23], v[38:39], v[74:75]
	v_add_f64 v[26:27], v[76:77], -v[80:81]
	v_add_f64 v[34:35], v[74:75], -v[78:79]
	s_delay_alu instid0(VALU_DEP_4) | instskip(SKIP_1) | instid1(VALU_DEP_1)
	v_fma_f64 v[24:25], v[18:19], -0.5, v[38:39]
	v_add_f64 v[18:19], v[76:77], v[80:81]
	v_fma_f64 v[28:29], v[18:19], -0.5, v[40:41]
	v_add_f64 v[18:19], v[40:41], v[76:77]
	s_delay_alu instid0(VALU_DEP_1)
	v_add_f64 v[20:21], v[18:19], v[80:81]
	v_add_f64 v[18:19], v[22:23], v[78:79]
	v_fma_f64 v[22:23], v[26:27], s[8:9], v[24:25]
	v_fma_f64 v[26:27], v[26:27], s[2:3], v[24:25]
	v_fma_f64 v[24:25], v[34:35], s[2:3], v[28:29]
	v_fma_f64 v[28:29], v[34:35], s[8:9], v[28:29]
	s_waitcnt vmcnt(0)
	ds_store_b128 v9, v[18:21]
	ds_store_b128 v9, v[22:25] offset:48
	ds_store_b128 v9, v[26:29] offset:96
	scratch_load_b32 v9, off, off offset:928 ; 4-byte Folded Reload
	v_add_f64 v[18:19], v[82:83], v[86:87]
	v_add_f64 v[22:23], v[42:43], v[82:83]
	v_add_f64 v[26:27], v[84:85], -v[88:89]
	v_add_f64 v[34:35], v[82:83], -v[86:87]
	s_delay_alu instid0(VALU_DEP_4) | instskip(SKIP_1) | instid1(VALU_DEP_1)
	v_fma_f64 v[24:25], v[18:19], -0.5, v[42:43]
	v_add_f64 v[18:19], v[84:85], v[88:89]
	;; [unrolled: 21-line block ×6, first 2 shown]
	v_fma_f64 v[28:29], v[18:19], -0.5, v[60:61]
	v_add_f64 v[18:19], v[60:61], v[116:117]
	s_delay_alu instid0(VALU_DEP_1)
	v_add_f64 v[20:21], v[18:19], v[120:121]
	v_add_f64 v[18:19], v[22:23], v[118:119]
	v_fma_f64 v[22:23], v[26:27], s[8:9], v[24:25]
	v_fma_f64 v[26:27], v[26:27], s[2:3], v[24:25]
	v_fma_f64 v[24:25], v[34:35], s[2:3], v[28:29]
	v_fma_f64 v[28:29], v[34:35], s[8:9], v[28:29]
	s_waitcnt vmcnt(0)
	ds_store_b128 v9, v[18:21]
	ds_store_b128 v9, v[22:25] offset:48
	ds_store_b128 v9, v[26:29] offset:96
	v_add_f64 v[18:19], v[16:17], v[12:13]
	v_add_f64 v[26:27], v[62:63], v[16:17]
	v_add_f64 v[28:29], v[10:11], -v[14:15]
	s_delay_alu instid0(VALU_DEP_3) | instskip(SKIP_1) | instid1(VALU_DEP_1)
	v_fma_f64 v[22:23], v[18:19], -0.5, v[62:63]
	v_add_f64 v[18:19], v[10:11], v[14:15]
	v_fma_f64 v[24:25], v[18:19], -0.5, v[64:65]
	v_add_f64 v[18:19], v[64:65], v[10:11]
	s_delay_alu instid0(VALU_DEP_4) | instskip(NEXT) | instid1(VALU_DEP_2)
	v_fma_f64 v[9:10], v[28:29], s[8:9], v[22:23]
	v_add_f64 v[20:21], v[18:19], v[14:15]
	v_add_f64 v[15:16], v[16:17], -v[12:13]
	scratch_load_b32 v17, off, off offset:788 ; 4-byte Folded Reload
	v_add_f64 v[18:19], v[26:27], v[12:13]
	v_fma_f64 v[13:14], v[28:29], s[2:3], v[22:23]
	v_fma_f64 v[11:12], v[15:16], s[2:3], v[24:25]
	;; [unrolled: 1-line block ×3, first 2 shown]
	s_waitcnt vmcnt(0)
	ds_store_b128 v17, v[18:21]
	ds_store_b128 v17, v[9:12] offset:48
	ds_store_b128 v17, v[13:16] offset:96
	v_add_f64 v[9:10], v[0:1], v[4:5]
	v_add_f64 v[17:18], v[30:31], v[0:1]
	s_delay_alu instid0(VALU_DEP_2) | instskip(SKIP_1) | instid1(VALU_DEP_1)
	v_fma_f64 v[13:14], v[9:10], -0.5, v[30:31]
	v_add_f64 v[9:10], v[2:3], v[6:7]
	v_fma_f64 v[15:16], v[9:10], -0.5, v[32:33]
	v_add_f64 v[9:10], v[32:33], v[2:3]
	v_add_f64 v[2:3], v[2:3], -v[6:7]
	s_delay_alu instid0(VALU_DEP_2) | instskip(SKIP_2) | instid1(VALU_DEP_4)
	v_add_f64 v[11:12], v[9:10], v[6:7]
	v_add_f64 v[9:10], v[17:18], v[4:5]
	v_add_f64 v[6:7], v[0:1], -v[4:5]
	v_fma_f64 v[0:1], v[2:3], s[8:9], v[13:14]
	v_fma_f64 v[4:5], v[2:3], s[2:3], v[13:14]
	scratch_load_b32 v13, off, off offset:1144 ; 4-byte Folded Reload
	v_fma_f64 v[2:3], v[6:7], s[2:3], v[15:16]
	v_fma_f64 v[6:7], v[6:7], s[8:9], v[15:16]
	s_waitcnt vmcnt(0)
	ds_store_b128 v13, v[9:12]
	ds_store_b128 v13, v[0:3] offset:48
	ds_store_b128 v13, v[4:7] offset:96
	s_waitcnt lgkmcnt(0)
	s_barrier
	buffer_gl0_inv
	s_clause 0x1
	scratch_load_b128 v[9:12], off, off offset:852
	scratch_load_b128 v[20:23], off, off offset:1080
	ds_load_b128 v[0:3], v8 offset:5184
	s_clause 0x1
	scratch_load_b128 v[28:31], off, off offset:1112
	scratch_load_b128 v[42:45], off, off offset:1128
	s_waitcnt vmcnt(3) lgkmcnt(0)
	v_mul_f64 v[4:5], v[11:12], v[2:3]
	s_delay_alu instid0(VALU_DEP_1) | instskip(SKIP_1) | instid1(VALU_DEP_1)
	v_fma_f64 v[46:47], v[9:10], v[0:1], v[4:5]
	v_mul_f64 v[0:1], v[11:12], v[0:1]
	v_fma_f64 v[48:49], v[9:10], v[2:3], -v[0:1]
	scratch_load_b128 v[9:12], off, off offset:868 ; 16-byte Folded Reload
	ds_load_b128 v[0:3], v8 offset:10368
	s_waitcnt vmcnt(0) lgkmcnt(0)
	v_mul_f64 v[4:5], v[11:12], v[2:3]
	s_delay_alu instid0(VALU_DEP_1) | instskip(SKIP_1) | instid1(VALU_DEP_1)
	v_fma_f64 v[50:51], v[9:10], v[0:1], v[4:5]
	v_mul_f64 v[0:1], v[11:12], v[0:1]
	v_fma_f64 v[52:53], v[9:10], v[2:3], -v[0:1]
	scratch_load_b128 v[9:12], off, off offset:884 ; 16-byte Folded Reload
	ds_load_b128 v[0:3], v8 offset:15552
	s_waitcnt vmcnt(0) lgkmcnt(0)
	v_mul_f64 v[4:5], v[11:12], v[2:3]
	s_delay_alu instid0(VALU_DEP_1) | instskip(SKIP_1) | instid1(VALU_DEP_1)
	v_fma_f64 v[54:55], v[9:10], v[0:1], v[4:5]
	v_mul_f64 v[0:1], v[11:12], v[0:1]
	v_fma_f64 v[56:57], v[9:10], v[2:3], -v[0:1]
	scratch_load_b128 v[9:12], off, off offset:904 ; 16-byte Folded Reload
	ds_load_b128 v[0:3], v8 offset:20736
	s_waitcnt vmcnt(0) lgkmcnt(0)
	v_mul_f64 v[4:5], v[11:12], v[2:3]
	s_delay_alu instid0(VALU_DEP_1) | instskip(SKIP_1) | instid1(VALU_DEP_1)
	v_fma_f64 v[58:59], v[9:10], v[0:1], v[4:5]
	v_mul_f64 v[0:1], v[11:12], v[0:1]
	v_fma_f64 v[60:61], v[9:10], v[2:3], -v[0:1]
	scratch_load_b128 v[9:12], off, off offset:948 ; 16-byte Folded Reload
	ds_load_b128 v[0:3], v8 offset:25920
	s_waitcnt vmcnt(0) lgkmcnt(0)
	v_mul_f64 v[4:5], v[11:12], v[2:3]
	s_delay_alu instid0(VALU_DEP_1) | instskip(SKIP_1) | instid1(VALU_DEP_1)
	v_fma_f64 v[62:63], v[9:10], v[0:1], v[4:5]
	v_mul_f64 v[0:1], v[11:12], v[0:1]
	v_fma_f64 v[64:65], v[9:10], v[2:3], -v[0:1]
	scratch_load_b128 v[9:12], off, off offset:964 ; 16-byte Folded Reload
	ds_load_b128 v[0:3], v8 offset:31104
	s_waitcnt vmcnt(0) lgkmcnt(0)
	v_mul_f64 v[4:5], v[11:12], v[2:3]
	s_delay_alu instid0(VALU_DEP_1) | instskip(SKIP_1) | instid1(VALU_DEP_2)
	v_fma_f64 v[66:67], v[9:10], v[0:1], v[4:5]
	v_mul_f64 v[0:1], v[11:12], v[0:1]
	v_add_f64 v[118:119], v[58:59], -v[66:67]
	s_delay_alu instid0(VALU_DEP_2)
	v_fma_f64 v[68:69], v[9:10], v[2:3], -v[0:1]
	scratch_load_b128 v[9:12], off, off offset:980 ; 16-byte Folded Reload
	ds_load_b128 v[0:3], v8 offset:36288
	v_add_f64 v[114:115], v[60:61], -v[68:69]
	s_waitcnt vmcnt(0) lgkmcnt(0)
	v_mul_f64 v[4:5], v[11:12], v[2:3]
	s_delay_alu instid0(VALU_DEP_1) | instskip(SKIP_1) | instid1(VALU_DEP_2)
	v_fma_f64 v[70:71], v[9:10], v[0:1], v[4:5]
	v_mul_f64 v[0:1], v[11:12], v[0:1]
	v_add_f64 v[102:103], v[62:63], -v[70:71]
	s_delay_alu instid0(VALU_DEP_2)
	v_fma_f64 v[72:73], v[9:10], v[2:3], -v[0:1]
	scratch_load_b128 v[9:12], off, off offset:996 ; 16-byte Folded Reload
	ds_load_b128 v[0:3], v8 offset:41472
	v_add_f64 v[106:107], v[64:65], -v[72:73]
	;; [unrolled: 11-line block ×4, first 2 shown]
	s_waitcnt vmcnt(0) lgkmcnt(0)
	v_mul_f64 v[4:5], v[11:12], v[2:3]
	s_delay_alu instid0(VALU_DEP_1) | instskip(SKIP_1) | instid1(VALU_DEP_1)
	v_fma_f64 v[36:37], v[9:10], v[0:1], v[4:5]
	v_mul_f64 v[0:1], v[11:12], v[0:1]
	v_fma_f64 v[32:33], v[9:10], v[2:3], -v[0:1]
	scratch_load_b128 v[9:12], off, off offset:1048 ; 16-byte Folded Reload
	ds_load_b128 v[0:3], v8 offset:12096
	s_waitcnt vmcnt(0) lgkmcnt(0)
	v_mul_f64 v[4:5], v[11:12], v[2:3]
	s_delay_alu instid0(VALU_DEP_1) | instskip(SKIP_1) | instid1(VALU_DEP_1)
	v_fma_f64 v[126:127], v[9:10], v[0:1], v[4:5]
	v_mul_f64 v[0:1], v[11:12], v[0:1]
	v_fma_f64 v[16:17], v[9:10], v[2:3], -v[0:1]
	scratch_load_b128 v[9:12], off, off offset:1064 ; 16-byte Folded Reload
	ds_load_b128 v[0:3], v8 offset:17280
	s_waitcnt vmcnt(0) lgkmcnt(0)
	v_mul_f64 v[4:5], v[11:12], v[2:3]
	s_delay_alu instid0(VALU_DEP_1) | instskip(SKIP_1) | instid1(VALU_DEP_1)
	v_fma_f64 v[18:19], v[9:10], v[0:1], v[4:5]
	v_mul_f64 v[0:1], v[11:12], v[0:1]
	v_fma_f64 v[96:97], v[9:10], v[2:3], -v[0:1]
	ds_load_b128 v[0:3], v8 offset:22464
	s_waitcnt lgkmcnt(0)
	v_mul_f64 v[4:5], v[22:23], v[2:3]
	s_delay_alu instid0(VALU_DEP_1) | instskip(SKIP_1) | instid1(VALU_DEP_1)
	v_fma_f64 v[12:13], v[20:21], v[0:1], v[4:5]
	v_mul_f64 v[0:1], v[22:23], v[0:1]
	v_fma_f64 v[26:27], v[20:21], v[2:3], -v[0:1]
	scratch_load_b128 v[20:23], off, off offset:1096 ; 16-byte Folded Reload
	ds_load_b128 v[0:3], v8 offset:27648
	s_waitcnt vmcnt(0) lgkmcnt(0)
	v_mul_f64 v[4:5], v[22:23], v[2:3]
	s_delay_alu instid0(VALU_DEP_1) | instskip(SKIP_1) | instid1(VALU_DEP_1)
	v_fma_f64 v[24:25], v[20:21], v[0:1], v[4:5]
	v_mul_f64 v[0:1], v[22:23], v[0:1]
	v_fma_f64 v[14:15], v[20:21], v[2:3], -v[0:1]
	ds_load_b128 v[0:3], v8 offset:32832
	s_waitcnt lgkmcnt(0)
	v_mul_f64 v[4:5], v[30:31], v[2:3]
	s_delay_alu instid0(VALU_DEP_1) | instskip(SKIP_1) | instid1(VALU_DEP_1)
	v_fma_f64 v[22:23], v[28:29], v[0:1], v[4:5]
	v_mul_f64 v[0:1], v[30:31], v[0:1]
	v_fma_f64 v[40:41], v[28:29], v[2:3], -v[0:1]
	ds_load_b128 v[0:3], v8 offset:38016
	s_waitcnt lgkmcnt(0)
	v_mul_f64 v[4:5], v[44:45], v[2:3]
	s_delay_alu instid0(VALU_DEP_1) | instskip(SKIP_2) | instid1(VALU_DEP_2)
	v_fma_f64 v[30:31], v[42:43], v[0:1], v[4:5]
	v_mul_f64 v[0:1], v[44:45], v[0:1]
	v_add_f64 v[44:45], v[48:49], v[56:57]
	v_fma_f64 v[10:11], v[42:43], v[2:3], -v[0:1]
	ds_load_b128 v[0:3], v8 offset:43200
	v_add_f64 v[44:45], v[44:45], v[64:65]
	s_waitcnt lgkmcnt(0)
	v_mul_f64 v[4:5], v[250:251], v[2:3]
	s_delay_alu instid0(VALU_DEP_2) | instskip(NEXT) | instid1(VALU_DEP_2)
	v_add_f64 v[44:45], v[44:45], v[72:73]
	v_fma_f64 v[34:35], v[248:249], v[0:1], v[4:5]
	v_mul_f64 v[0:1], v[250:251], v[0:1]
	s_delay_alu instid0(VALU_DEP_3) | instskip(NEXT) | instid1(VALU_DEP_2)
	v_add_f64 v[44:45], v[44:45], v[80:81]
	v_fma_f64 v[4:5], v[248:249], v[2:3], -v[0:1]
	ds_load_b128 v[0:3], v8 offset:48384
	s_waitcnt lgkmcnt(0)
	v_mul_f64 v[6:7], v[246:247], v[2:3]
	s_delay_alu instid0(VALU_DEP_1) | instskip(SKIP_1) | instid1(VALU_DEP_1)
	v_fma_f64 v[38:39], v[244:245], v[0:1], v[6:7]
	v_mul_f64 v[0:1], v[246:247], v[0:1]
	v_fma_f64 v[6:7], v[244:245], v[2:3], -v[0:1]
	ds_load_b128 v[0:3], v8 offset:8640
	s_waitcnt lgkmcnt(0)
	v_mul_f64 v[20:21], v[242:243], v[2:3]
	s_delay_alu instid0(VALU_DEP_1) | instskip(SKIP_1) | instid1(VALU_DEP_1)
	v_fma_f64 v[244:245], v[240:241], v[0:1], v[20:21]
	v_mul_f64 v[0:1], v[242:243], v[0:1]
	;; [unrolled: 7-line block ×9, first 2 shown]
	v_fma_f64 v[248:249], v[212:213], v[2:3], -v[0:1]
	ds_load_b128 v[0:3], v8 offset:50112
	s_waitcnt lgkmcnt(0)
	v_mul_f64 v[42:43], v[210:211], v[2:3]
	s_delay_alu instid0(VALU_DEP_1) | instskip(SKIP_2) | instid1(VALU_DEP_2)
	v_fma_f64 v[250:251], v[208:209], v[0:1], v[42:43]
	v_mul_f64 v[0:1], v[210:211], v[0:1]
	v_add_f64 v[42:43], v[58:59], v[66:67]
	v_fma_f64 v[218:219], v[208:209], v[2:3], -v[0:1]
	ds_load_b128 v[0:3], v8
	s_waitcnt lgkmcnt(0)
	v_fma_f64 v[82:83], v[42:43], -0.5, v[0:1]
	v_add_f64 v[42:43], v[50:51], v[74:75]
	s_delay_alu instid0(VALU_DEP_1) | instskip(SKIP_2) | instid1(VALU_DEP_2)
	v_fma_f64 v[84:85], v[42:43], -0.5, v[0:1]
	v_add_f64 v[42:43], v[60:61], v[68:69]
	v_add_f64 v[0:1], v[0:1], v[50:51]
	v_fma_f64 v[86:87], v[42:43], -0.5, v[2:3]
	v_add_f64 v[42:43], v[52:53], v[76:77]
	s_delay_alu instid0(VALU_DEP_3) | instskip(NEXT) | instid1(VALU_DEP_2)
	v_add_f64 v[0:1], v[0:1], v[58:59]
	v_fma_f64 v[88:89], v[42:43], -0.5, v[2:3]
	v_add_f64 v[2:3], v[2:3], v[52:53]
	v_add_f64 v[42:43], v[46:47], v[54:55]
	s_delay_alu instid0(VALU_DEP_4) | instskip(NEXT) | instid1(VALU_DEP_3)
	v_add_f64 v[0:1], v[0:1], v[66:67]
	v_add_f64 v[2:3], v[2:3], v[60:61]
	s_delay_alu instid0(VALU_DEP_3) | instskip(NEXT) | instid1(VALU_DEP_3)
	v_add_f64 v[42:43], v[42:43], v[62:63]
	v_add_f64 v[0:1], v[0:1], v[74:75]
	s_delay_alu instid0(VALU_DEP_3) | instskip(NEXT) | instid1(VALU_DEP_3)
	v_add_f64 v[2:3], v[2:3], v[68:69]
	v_add_f64 v[42:43], v[42:43], v[70:71]
	s_delay_alu instid0(VALU_DEP_2) | instskip(NEXT) | instid1(VALU_DEP_2)
	v_add_f64 v[2:3], v[2:3], v[76:77]
	v_add_f64 v[42:43], v[42:43], v[78:79]
	s_delay_alu instid0(VALU_DEP_2) | instskip(NEXT) | instid1(VALU_DEP_2)
	v_add_f64 v[238:239], v[2:3], v[44:45]
	v_add_f64 v[236:237], v[0:1], v[42:43]
	v_add_f64 v[208:209], v[0:1], -v[42:43]
	v_add_f64 v[210:211], v[2:3], -v[44:45]
	;; [unrolled: 1-line block ×9, first 2 shown]
	v_add_f64 v[0:1], v[0:1], v[2:3]
	v_add_f64 v[2:3], v[52:53], -v[60:61]
	v_add_f64 v[52:53], v[60:61], -v[52:53]
	;; [unrolled: 1-line block ×4, first 2 shown]
	v_add_f64 v[58:59], v[50:51], v[58:59]
	v_add_f64 v[2:3], v[2:3], v[42:43]
	v_add_f64 v[42:43], v[54:55], -v[62:63]
	v_add_f64 v[60:61], v[52:53], v[60:61]
	s_delay_alu instid0(VALU_DEP_2) | instskip(SKIP_2) | instid1(VALU_DEP_1)
	v_add_f64 v[90:91], v[42:43], v[44:45]
	v_add_f64 v[42:43], v[56:57], -v[64:65]
	v_add_f64 v[44:45], v[80:81], -v[72:73]
	v_add_f64 v[92:93], v[42:43], v[44:45]
	v_add_f64 v[42:43], v[62:63], v[70:71]
	v_add_f64 v[62:63], v[62:63], -v[54:55]
	v_add_f64 v[54:55], v[54:55], v[78:79]
	v_add_f64 v[78:79], v[18:19], -v[38:39]
	s_delay_alu instid0(VALU_DEP_4)
	v_fma_f64 v[94:95], v[42:43], -0.5, v[46:47]
	v_add_f64 v[42:43], v[64:65], v[72:73]
	v_add_f64 v[64:65], v[64:65], -v[56:57]
	v_add_f64 v[56:57], v[56:57], v[80:81]
	v_fma_f64 v[54:55], v[54:55], -0.5, v[46:47]
	v_add_f64 v[62:63], v[62:63], v[66:67]
	v_add_f64 v[80:81], v[24:25], -v[30:31]
	v_fma_f64 v[44:45], v[104:105], s[20:21], v[94:95]
	v_fma_f64 v[98:99], v[42:43], -0.5, v[48:49]
	v_add_f64 v[64:65], v[64:65], v[68:69]
	v_fma_f64 v[56:57], v[56:57], -0.5, v[48:49]
	v_fma_f64 v[48:49], v[106:107], s[18:19], v[54:55]
	v_fma_f64 v[54:55], v[106:107], s[20:21], v[54:55]
	;; [unrolled: 1-line block ×16, first 2 shown]
	s_delay_alu instid0(VALU_DEP_4) | instskip(NEXT) | instid1(VALU_DEP_3)
	v_fma_f64 v[56:57], v[64:65], s[14:15], v[56:57]
	v_mul_f64 v[108:109], v[42:43], s[16:17]
	v_mul_f64 v[42:43], v[42:43], s[22:23]
	s_delay_alu instid0(VALU_DEP_4)
	v_mul_f64 v[50:51], v[46:47], s[20:21]
	v_mul_f64 v[46:47], v[46:47], s[14:15]
	;; [unrolled: 1-line block ×4, first 2 shown]
	v_fma_f64 v[108:109], v[44:45], s[22:23], v[108:109]
	v_fma_f64 v[110:111], v[44:45], s[12:13], v[42:43]
	;; [unrolled: 1-line block ×12, first 2 shown]
	s_delay_alu instid0(VALU_DEP_4) | instskip(NEXT) | instid1(VALU_DEP_4)
	v_fma_f64 v[42:43], v[114:115], s[16:17], v[42:43]
	v_fma_f64 v[44:45], v[118:119], s[12:13], v[44:45]
	s_delay_alu instid0(VALU_DEP_4) | instskip(NEXT) | instid1(VALU_DEP_4)
	v_fma_f64 v[66:67], v[58:59], s[14:15], v[46:47]
	v_fma_f64 v[68:69], v[60:61], s[14:15], v[48:49]
	;; [unrolled: 3-line block ×3, first 2 shown]
	s_delay_alu instid0(VALU_DEP_4)
	v_add_f64 v[46:47], v[66:67], v[50:51]
	v_add_f64 v[50:51], v[66:67], -v[50:51]
	v_fma_f64 v[66:67], v[114:115], s[20:21], v[84:85]
	v_add_f64 v[48:49], v[68:69], v[52:53]
	v_add_f64 v[52:53], v[68:69], -v[52:53]
	v_fma_f64 v[68:69], v[104:105], s[18:19], v[94:95]
	v_add_f64 v[42:43], v[120:121], v[108:109]
	v_add_f64 v[44:45], v[122:123], v[110:111]
	v_add_f64 v[212:213], v[120:121], -v[108:109]
	v_add_f64 v[214:215], v[122:123], -v[110:111]
	;; [unrolled: 1-line block ×3, first 2 shown]
	v_fma_f64 v[66:67], v[112:113], s[12:13], v[66:67]
	v_fma_f64 v[68:69], v[106:107], s[12:13], v[68:69]
	s_delay_alu instid0(VALU_DEP_2) | instskip(SKIP_2) | instid1(VALU_DEP_3)
	v_fma_f64 v[58:59], v[58:59], s[14:15], v[66:67]
	v_fma_f64 v[66:67], v[118:119], s[18:19], v[88:89]
	v_add_f64 v[88:89], v[26:27], -v[40:41]
	v_add_f64 v[54:55], v[58:59], v[62:63]
	s_delay_alu instid0(VALU_DEP_3) | instskip(SKIP_2) | instid1(VALU_DEP_3)
	v_fma_f64 v[66:67], v[116:117], s[16:17], v[66:67]
	v_add_f64 v[58:59], v[58:59], -v[62:63]
	v_fma_f64 v[62:63], v[100:101], s[20:21], v[98:99]
	v_fma_f64 v[60:61], v[60:61], s[14:15], v[66:67]
	v_fma_f64 v[66:67], v[116:117], s[20:21], v[86:87]
	s_delay_alu instid0(VALU_DEP_3) | instskip(SKIP_1) | instid1(VALU_DEP_4)
	v_fma_f64 v[62:63], v[102:103], s[16:17], v[62:63]
	v_add_f64 v[86:87], v[16:17], -v[4:5]
	v_add_f64 v[56:57], v[60:61], v[64:65]
	v_add_f64 v[60:61], v[60:61], -v[64:65]
	v_fma_f64 v[64:65], v[112:113], s[18:19], v[82:83]
	v_fma_f64 v[66:67], v[118:119], s[16:17], v[66:67]
	;; [unrolled: 1-line block ×3, first 2 shown]
	v_add_f64 v[82:83], v[96:97], -v[6:7]
	v_add_f64 v[92:93], v[12:13], -v[22:23]
	v_fma_f64 v[64:65], v[114:115], s[12:13], v[64:65]
	v_fma_f64 v[2:3], v[2:3], s[14:15], v[66:67]
	v_mul_f64 v[66:67], v[62:63], s[16:17]
	v_mul_f64 v[62:63], v[62:63], s[26:27]
	s_delay_alu instid0(VALU_DEP_4) | instskip(SKIP_2) | instid1(VALU_DEP_2)
	v_fma_f64 v[0:1], v[0:1], s[14:15], v[64:65]
	v_fma_f64 v[64:65], v[90:91], s[14:15], v[68:69]
	v_add_f64 v[90:91], v[126:127], -v[34:35]
	v_fma_f64 v[66:67], v[64:65], s[26:27], v[66:67]
	v_fma_f64 v[68:69], v[64:65], s[12:13], v[62:63]
	s_delay_alu instid0(VALU_DEP_2) | instskip(NEXT) | instid1(VALU_DEP_2)
	v_add_f64 v[62:63], v[0:1], v[66:67]
	v_add_f64 v[64:65], v[2:3], v[68:69]
	v_add_f64 v[66:67], v[0:1], -v[66:67]
	v_add_f64 v[68:69], v[2:3], -v[68:69]
	ds_load_b128 v[70:73], v8 offset:1728
	ds_load_b128 v[0:3], v8 offset:3456
	s_waitcnt lgkmcnt(0)
	s_barrier
	buffer_gl0_inv
	ds_store_b128 v183, v[236:239]
	ds_store_b128 v183, v[208:211] offset:720
	ds_store_b128 v183, v[42:45] offset:144
	;; [unrolled: 1-line block ×9, first 2 shown]
	v_add_f64 v[42:43], v[12:13], v[22:23]
	v_add_f64 v[44:45], v[72:73], v[16:17]
	;; [unrolled: 1-line block ×4, first 2 shown]
	s_delay_alu instid0(VALU_DEP_4) | instskip(SKIP_4) | instid1(VALU_DEP_4)
	v_fma_f64 v[58:59], v[42:43], -0.5, v[70:71]
	v_add_f64 v[42:43], v[126:127], v[34:35]
	v_add_f64 v[44:45], v[44:45], v[26:27]
	;; [unrolled: 1-line block ×4, first 2 shown]
	v_fma_f64 v[60:61], v[42:43], -0.5, v[70:71]
	v_add_f64 v[42:43], v[26:27], v[40:41]
	v_add_f64 v[44:45], v[44:45], v[40:41]
	;; [unrolled: 1-line block ×4, first 2 shown]
	s_delay_alu instid0(VALU_DEP_4) | instskip(SKIP_4) | instid1(VALU_DEP_4)
	v_fma_f64 v[62:63], v[42:43], -0.5, v[72:73]
	v_add_f64 v[42:43], v[16:17], v[4:5]
	v_add_f64 v[52:53], v[44:45], v[4:5]
	;; [unrolled: 1-line block ×4, first 2 shown]
	v_fma_f64 v[64:65], v[42:43], -0.5, v[72:73]
	v_add_f64 v[42:43], v[70:71], v[126:127]
	s_delay_alu instid0(VALU_DEP_3) | instskip(SKIP_2) | instid1(VALU_DEP_4)
	v_add_f64 v[44:45], v[52:53], v[48:49]
	v_add_f64 v[48:49], v[52:53], -v[48:49]
	v_add_f64 v[52:53], v[34:35], -v[22:23]
	v_add_f64 v[42:43], v[42:43], v[12:13]
	s_delay_alu instid0(VALU_DEP_1) | instskip(SKIP_1) | instid1(VALU_DEP_2)
	v_add_f64 v[42:43], v[42:43], v[22:23]
	v_add_f64 v[22:23], v[22:23], -v[34:35]
	v_add_f64 v[50:51], v[42:43], v[34:35]
	s_delay_alu instid0(VALU_DEP_1) | instskip(SKIP_3) | instid1(VALU_DEP_2)
	v_add_f64 v[42:43], v[50:51], v[46:47]
	v_add_f64 v[46:47], v[50:51], -v[46:47]
	v_add_f64 v[50:51], v[126:127], -v[12:13]
	;; [unrolled: 1-line block ×3, first 2 shown]
	v_add_f64 v[66:67], v[50:51], v[52:53]
	v_add_f64 v[50:51], v[16:17], -v[26:27]
	v_add_f64 v[52:53], v[4:5], -v[40:41]
	;; [unrolled: 1-line block ×5, first 2 shown]
	v_add_f64 v[22:23], v[12:13], v[22:23]
	v_add_f64 v[68:69], v[50:51], v[52:53]
	v_add_f64 v[50:51], v[18:19], -v[24:25]
	v_add_f64 v[52:53], v[38:39], -v[30:31]
	v_add_f64 v[16:17], v[16:17], v[4:5]
	s_delay_alu instid0(VALU_DEP_2) | instskip(SKIP_2) | instid1(VALU_DEP_1)
	v_add_f64 v[70:71], v[50:51], v[52:53]
	v_add_f64 v[50:51], v[96:97], -v[14:15]
	v_add_f64 v[52:53], v[6:7], -v[10:11]
	v_add_f64 v[72:73], v[50:51], v[52:53]
	v_add_f64 v[50:51], v[24:25], v[30:31]
	;; [unrolled: 1-line block ×3, first 2 shown]
	v_add_f64 v[24:25], v[24:25], -v[18:19]
	v_add_f64 v[18:19], v[18:19], v[38:39]
	v_add_f64 v[6:7], v[10:11], -v[6:7]
	v_fma_f64 v[74:75], v[50:51], -0.5, v[36:37]
	v_fma_f64 v[30:31], v[30:31], -0.5, v[32:33]
	v_add_f64 v[50:51], v[14:15], v[10:11]
	v_add_f64 v[14:15], v[14:15], -v[96:97]
	v_fma_f64 v[18:19], v[18:19], -0.5, v[36:37]
	v_add_f64 v[24:25], v[24:25], v[26:27]
	v_fma_f64 v[52:53], v[82:83], s[20:21], v[74:75]
	v_fma_f64 v[4:5], v[80:81], s[20:21], v[30:31]
	v_fma_f64 v[76:77], v[50:51], -0.5, v[32:33]
	v_add_f64 v[13:14], v[14:15], v[6:7]
	v_fma_f64 v[6:7], v[84:85], s[18:19], v[18:19]
	v_fma_f64 v[52:53], v[84:85], s[16:17], v[52:53]
	;; [unrolled: 1-line block ×4, first 2 shown]
	s_delay_alu instid0(VALU_DEP_4) | instskip(NEXT) | instid1(VALU_DEP_4)
	v_fma_f64 v[6:7], v[82:83], s[16:17], v[6:7]
	v_fma_f64 v[52:53], v[70:71], s[14:15], v[52:53]
	s_delay_alu instid0(VALU_DEP_4) | instskip(NEXT) | instid1(VALU_DEP_4)
	v_fma_f64 v[4:5], v[13:14], s[14:15], v[4:5]
	v_fma_f64 v[50:51], v[80:81], s[12:13], v[50:51]
	s_delay_alu instid0(VALU_DEP_4) | instskip(NEXT) | instid1(VALU_DEP_3)
	v_fma_f64 v[6:7], v[24:25], s[14:15], v[6:7]
	v_mul_f64 v[9:10], v[4:5], s[20:21]
	v_mul_f64 v[4:5], v[4:5], s[14:15]
	s_delay_alu instid0(VALU_DEP_4) | instskip(NEXT) | instid1(VALU_DEP_3)
	v_fma_f64 v[50:51], v[72:73], s[14:15], v[50:51]
	v_fma_f64 v[9:10], v[6:7], s[14:15], v[9:10]
	s_delay_alu instid0(VALU_DEP_3) | instskip(SKIP_4) | instid1(VALU_DEP_4)
	v_fma_f64 v[11:12], v[6:7], s[18:19], v[4:5]
	v_fma_f64 v[4:5], v[88:89], s[18:19], v[60:61]
	;; [unrolled: 1-line block ×3, first 2 shown]
	v_mul_f64 v[54:55], v[50:51], s[16:17]
	v_mul_f64 v[50:51], v[50:51], s[22:23]
	v_fma_f64 v[4:5], v[86:87], s[16:17], v[4:5]
	s_delay_alu instid0(VALU_DEP_4) | instskip(NEXT) | instid1(VALU_DEP_4)
	v_fma_f64 v[6:7], v[90:91], s[12:13], v[6:7]
	v_fma_f64 v[54:55], v[52:53], s[22:23], v[54:55]
	s_delay_alu instid0(VALU_DEP_4) | instskip(SKIP_4) | instid1(VALU_DEP_4)
	v_fma_f64 v[56:57], v[52:53], s[12:13], v[50:51]
	v_fma_f64 v[50:51], v[86:87], s[20:21], v[58:59]
	;; [unrolled: 1-line block ×6, first 2 shown]
	s_delay_alu instid0(VALU_DEP_4) | instskip(NEXT) | instid1(VALU_DEP_4)
	v_fma_f64 v[52:53], v[92:93], s[12:13], v[52:53]
	v_add_f64 v[4:5], v[26:27], v[9:10]
	v_add_f64 v[9:10], v[26:27], -v[9:10]
	v_fma_f64 v[26:27], v[88:89], s[20:21], v[60:61]
	v_add_f64 v[6:7], v[32:33], v[11:12]
	v_add_f64 v[11:12], v[32:33], -v[11:12]
	v_fma_f64 v[32:33], v[82:83], s[18:19], v[74:75]
	v_fma_f64 v[94:95], v[66:67], s[14:15], v[50:51]
	;; [unrolled: 1-line block ×4, first 2 shown]
	s_delay_alu instid0(VALU_DEP_4) | instskip(NEXT) | instid1(VALU_DEP_4)
	v_fma_f64 v[32:33], v[84:85], s[12:13], v[32:33]
	v_add_f64 v[50:51], v[94:95], v[54:55]
	s_delay_alu instid0(VALU_DEP_4) | instskip(SKIP_4) | instid1(VALU_DEP_1)
	v_add_f64 v[52:53], v[98:99], v[56:57]
	v_add_f64 v[54:55], v[94:95], -v[54:55]
	v_add_f64 v[56:57], v[98:99], -v[56:57]
	v_fma_f64 v[22:23], v[22:23], s[14:15], v[26:27]
	v_fma_f64 v[26:27], v[92:93], s[18:19], v[64:65]
	;; [unrolled: 1-line block ×3, first 2 shown]
	s_delay_alu instid0(VALU_DEP_1) | instskip(SKIP_4) | instid1(VALU_DEP_4)
	v_fma_f64 v[26:27], v[16:17], s[14:15], v[26:27]
	v_fma_f64 v[15:16], v[80:81], s[18:19], v[30:31]
	;; [unrolled: 1-line block ×3, first 2 shown]
	v_add_f64 v[61:62], v[242:243], -v[246:247]
	v_add_f64 v[63:64], v[234:235], -v[226:227]
	v_fma_f64 v[15:16], v[78:79], s[16:17], v[15:16]
	s_delay_alu instid0(VALU_DEP_4) | instskip(NEXT) | instid1(VALU_DEP_2)
	v_fma_f64 v[30:31], v[92:93], s[16:17], v[30:31]
	v_fma_f64 v[13:14], v[13:14], s[14:15], v[15:16]
	;; [unrolled: 1-line block ×3, first 2 shown]
	s_delay_alu instid0(VALU_DEP_3)
	v_fma_f64 v[36:37], v[68:69], s[14:15], v[30:31]
	v_fma_f64 v[30:31], v[70:71], s[14:15], v[32:33]
	v_add_f64 v[69:70], v[222:223], -v[250:251]
	v_mul_f64 v[17:18], v[13:14], s[20:21]
	v_fma_f64 v[15:16], v[82:83], s[12:13], v[15:16]
	v_mul_f64 v[13:14], v[13:14], s[24:25]
	s_delay_alu instid0(VALU_DEP_2) | instskip(NEXT) | instid1(VALU_DEP_1)
	v_fma_f64 v[15:16], v[24:25], s[14:15], v[15:16]
	v_fma_f64 v[17:18], v[15:16], s[24:25], v[17:18]
	s_delay_alu instid0(VALU_DEP_3) | instskip(NEXT) | instid1(VALU_DEP_2)
	v_fma_f64 v[24:25], v[15:16], s[18:19], v[13:14]
	v_add_f64 v[13:14], v[22:23], v[17:18]
	v_add_f64 v[22:23], v[22:23], -v[17:18]
	v_fma_f64 v[17:18], v[78:79], s[20:21], v[76:77]
	s_delay_alu instid0(VALU_DEP_4)
	v_add_f64 v[15:16], v[26:27], v[24:25]
	v_add_f64 v[24:25], v[26:27], -v[24:25]
	v_fma_f64 v[26:27], v[86:87], s[18:19], v[58:59]
	v_add_f64 v[59:60], v[228:229], -v[220:221]
	v_add_f64 v[75:76], v[216:217], -v[218:219]
	v_fma_f64 v[17:18], v[80:81], s[16:17], v[17:18]
	s_delay_alu instid0(VALU_DEP_4) | instskip(NEXT) | instid1(VALU_DEP_2)
	v_fma_f64 v[26:27], v[88:89], s[12:13], v[26:27]
	v_fma_f64 v[17:18], v[72:73], s[14:15], v[17:18]
	v_add_f64 v[73:74], v[232:233], v[218:219]
	v_add_f64 v[71:72], v[224:225], -v[232:233]
	s_delay_alu instid0(VALU_DEP_4)
	v_fma_f64 v[26:27], v[66:67], s[14:15], v[26:27]
	v_add_f64 v[65:66], v[220:221], -v[248:249]
	v_add_f64 v[67:68], v[230:231], -v[20:21]
	v_mul_f64 v[32:33], v[17:18], s[16:17]
	v_mul_f64 v[17:18], v[17:18], s[26:27]
	v_fma_f64 v[73:74], v[73:74], -0.5, v[240:241]
	s_delay_alu instid0(VALU_DEP_4) | instskip(SKIP_3) | instid1(VALU_DEP_2)
	v_add_f64 v[67:68], v[67:68], v[69:70]
	v_add_f64 v[69:70], v[71:72], v[75:76]
	v_fma_f64 v[34:35], v[30:31], s[26:27], v[32:33]
	v_fma_f64 v[17:18], v[30:31], s[12:13], v[17:18]
	v_add_f64 v[30:31], v[26:27], v[34:35]
	s_delay_alu instid0(VALU_DEP_2)
	v_add_f64 v[32:33], v[36:37], v[17:18]
	v_add_f64 v[34:35], v[26:27], -v[34:35]
	v_add_f64 v[36:37], v[36:37], -v[17:18]
	ds_store_b128 v185, v[42:45]
	ds_store_b128 v185, v[50:53] offset:144
	ds_store_b128 v185, v[4:7] offset:288
	;; [unrolled: 1-line block ×9, first 2 shown]
	v_add_f64 v[4:5], v[234:235], v[226:227]
	v_add_f64 v[6:7], v[240:241], v[232:233]
	v_add_f64 v[49:50], v[20:21], -v[250:251]
	v_add_f64 v[51:52], v[230:231], -v[222:223]
	;; [unrolled: 1-line block ×5, first 2 shown]
	v_fma_f64 v[33:34], v[4:5], -0.5, v[0:1]
	v_add_f64 v[4:5], v[242:243], v[246:247]
	v_add_f64 v[6:7], v[6:7], v[224:225]
	s_delay_alu instid0(VALU_DEP_2) | instskip(SKIP_2) | instid1(VALU_DEP_4)
	v_fma_f64 v[25:26], v[4:5], -0.5, v[0:1]
	v_add_f64 v[4:5], v[228:229], v[220:221]
	v_add_f64 v[0:1], v[0:1], v[242:243]
	v_add_f64 v[6:7], v[6:7], v[216:217]
	s_delay_alu instid0(VALU_DEP_3) | instskip(SKIP_1) | instid1(VALU_DEP_4)
	v_fma_f64 v[35:36], v[4:5], -0.5, v[2:3]
	v_add_f64 v[4:5], v[28:29], v[248:249]
	v_add_f64 v[0:1], v[0:1], v[234:235]
	s_delay_alu instid0(VALU_DEP_4) | instskip(NEXT) | instid1(VALU_DEP_3)
	v_add_f64 v[6:7], v[6:7], v[218:219]
	v_fma_f64 v[30:31], v[4:5], -0.5, v[2:3]
	v_add_f64 v[2:3], v[2:3], v[28:29]
	v_add_f64 v[4:5], v[244:245], v[20:21]
	;; [unrolled: 1-line block ×3, first 2 shown]
	s_delay_alu instid0(VALU_DEP_3) | instskip(NEXT) | instid1(VALU_DEP_3)
	v_add_f64 v[2:3], v[2:3], v[228:229]
	v_add_f64 v[4:5], v[4:5], v[230:231]
	s_delay_alu instid0(VALU_DEP_3) | instskip(NEXT) | instid1(VALU_DEP_3)
	v_add_f64 v[9:10], v[0:1], v[246:247]
	v_add_f64 v[2:3], v[2:3], v[220:221]
	s_delay_alu instid0(VALU_DEP_3) | instskip(NEXT) | instid1(VALU_DEP_2)
	v_add_f64 v[4:5], v[4:5], v[222:223]
	v_add_f64 v[11:12], v[2:3], v[248:249]
	s_delay_alu instid0(VALU_DEP_2) | instskip(NEXT) | instid1(VALU_DEP_2)
	v_add_f64 v[4:5], v[4:5], v[250:251]
	v_add_f64 v[2:3], v[11:12], v[6:7]
	s_delay_alu instid0(VALU_DEP_2) | instskip(SKIP_4) | instid1(VALU_DEP_1)
	v_add_f64 v[0:1], v[9:10], v[4:5]
	v_add_f64 v[4:5], v[9:10], -v[4:5]
	v_add_f64 v[6:7], v[11:12], -v[6:7]
	;; [unrolled: 1-line block ×4, first 2 shown]
	v_add_f64 v[37:38], v[9:10], v[11:12]
	v_add_f64 v[9:10], v[28:29], -v[228:229]
	v_add_f64 v[11:12], v[248:249], -v[220:221]
	;; [unrolled: 1-line block ×3, first 2 shown]
	s_delay_alu instid0(VALU_DEP_2) | instskip(SKIP_4) | instid1(VALU_DEP_3)
	v_add_f64 v[39:40], v[9:10], v[11:12]
	v_add_f64 v[9:10], v[20:21], -v[230:231]
	v_add_f64 v[11:12], v[250:251], -v[222:223]
	v_add_f64 v[19:20], v[20:21], v[250:251]
	v_add_f64 v[27:28], v[27:28], v[65:66]
	;; [unrolled: 1-line block ×3, first 2 shown]
	v_add_f64 v[9:10], v[232:233], -v[224:225]
	v_add_f64 v[11:12], v[218:219], -v[216:217]
	v_fma_f64 v[65:66], v[19:20], -0.5, v[244:245]
	s_delay_alu instid0(VALU_DEP_2) | instskip(SKIP_1) | instid1(VALU_DEP_3)
	v_add_f64 v[43:44], v[9:10], v[11:12]
	v_add_f64 v[9:10], v[230:231], v[222:223]
	v_fma_f64 v[19:20], v[55:56], s[18:19], v[65:66]
	s_delay_alu instid0(VALU_DEP_2) | instskip(SKIP_1) | instid1(VALU_DEP_3)
	v_fma_f64 v[45:46], v[9:10], -0.5, v[244:245]
	v_add_f64 v[9:10], v[224:225], v[216:217]
	v_fma_f64 v[19:20], v[53:54], s[16:17], v[19:20]
	s_delay_alu instid0(VALU_DEP_3) | instskip(NEXT) | instid1(VALU_DEP_3)
	v_fma_f64 v[11:12], v[53:54], s[20:21], v[45:46]
	v_fma_f64 v[47:48], v[9:10], -0.5, v[240:241]
	s_delay_alu instid0(VALU_DEP_3) | instskip(SKIP_1) | instid1(VALU_DEP_4)
	v_fma_f64 v[19:20], v[67:68], s[14:15], v[19:20]
	v_fma_f64 v[45:46], v[53:54], s[18:19], v[45:46]
	;; [unrolled: 1-line block ×3, first 2 shown]
	s_delay_alu instid0(VALU_DEP_4) | instskip(SKIP_1) | instid1(VALU_DEP_4)
	v_fma_f64 v[9:10], v[49:50], s[18:19], v[47:48]
	v_fma_f64 v[47:48], v[49:50], s[20:21], v[47:48]
	;; [unrolled: 1-line block ×3, first 2 shown]
	s_delay_alu instid0(VALU_DEP_4) | instskip(NEXT) | instid1(VALU_DEP_4)
	v_fma_f64 v[11:12], v[41:42], s[14:15], v[11:12]
	v_fma_f64 v[9:10], v[51:52], s[12:13], v[9:10]
	s_delay_alu instid0(VALU_DEP_4) | instskip(NEXT) | instid1(VALU_DEP_2)
	v_fma_f64 v[47:48], v[51:52], s[16:17], v[47:48]
	v_fma_f64 v[9:10], v[43:44], s[14:15], v[9:10]
	s_delay_alu instid0(VALU_DEP_2) | instskip(NEXT) | instid1(VALU_DEP_2)
	v_fma_f64 v[43:44], v[43:44], s[14:15], v[47:48]
	v_mul_f64 v[13:14], v[9:10], s[16:17]
	v_mul_f64 v[9:10], v[9:10], s[22:23]
	s_delay_alu instid0(VALU_DEP_2) | instskip(NEXT) | instid1(VALU_DEP_2)
	v_fma_f64 v[13:14], v[11:12], s[22:23], v[13:14]
	v_fma_f64 v[15:16], v[11:12], s[12:13], v[9:10]
	;; [unrolled: 1-line block ×6, first 2 shown]
	s_delay_alu instid0(VALU_DEP_4) | instskip(NEXT) | instid1(VALU_DEP_4)
	v_fma_f64 v[9:10], v[59:60], s[16:17], v[9:10]
	v_fma_f64 v[11:12], v[63:64], s[12:13], v[11:12]
	s_delay_alu instid0(VALU_DEP_4) | instskip(NEXT) | instid1(VALU_DEP_4)
	v_fma_f64 v[33:34], v[59:60], s[12:13], v[33:34]
	v_fma_f64 v[35:36], v[63:64], s[16:17], v[35:36]
	;; [unrolled: 3-line block ×4, first 2 shown]
	v_fma_f64 v[33:34], v[41:42], s[14:15], v[45:46]
	v_mul_f64 v[35:36], v[43:44], s[16:17]
	v_mul_f64 v[41:42], v[43:44], s[26:27]
	v_add_f64 v[9:10], v[17:18], v[13:14]
	v_add_f64 v[11:12], v[22:23], v[15:16]
	v_add_f64 v[13:14], v[17:18], -v[13:14]
	v_add_f64 v[15:16], v[22:23], -v[15:16]
	;; [unrolled: 1-line block ×4, first 2 shown]
	v_fma_f64 v[43:44], v[33:34], s[26:27], v[35:36]
	v_fma_f64 v[41:42], v[33:34], s[12:13], v[41:42]
	s_delay_alu instid0(VALU_DEP_3) | instskip(SKIP_1) | instid1(VALU_DEP_4)
	v_add_f64 v[77:78], v[17:18], v[22:23]
	v_fma_f64 v[17:18], v[51:52], s[20:21], v[73:74]
	v_add_f64 v[33:34], v[37:38], v[43:44]
	s_delay_alu instid0(VALU_DEP_4) | instskip(SKIP_3) | instid1(VALU_DEP_1)
	v_add_f64 v[35:36], v[39:40], v[41:42]
	v_add_f64 v[37:38], v[37:38], -v[43:44]
	v_add_f64 v[39:40], v[39:40], -v[41:42]
	v_fma_f64 v[17:18], v[49:50], s[12:13], v[17:18]
	v_fma_f64 v[17:18], v[69:70], s[14:15], v[17:18]
	s_delay_alu instid0(VALU_DEP_1) | instskip(SKIP_1) | instid1(VALU_DEP_2)
	v_mul_f64 v[21:22], v[17:18], s[20:21]
	v_mul_f64 v[17:18], v[17:18], s[14:15]
	v_fma_f64 v[21:22], v[19:20], s[14:15], v[21:22]
	s_delay_alu instid0(VALU_DEP_2) | instskip(SKIP_3) | instid1(VALU_DEP_3)
	v_fma_f64 v[23:24], v[19:20], s[18:19], v[17:18]
	v_fma_f64 v[17:18], v[59:60], s[18:19], v[25:26]
	;; [unrolled: 1-line block ×5, first 2 shown]
	s_delay_alu instid0(VALU_DEP_3) | instskip(NEXT) | instid1(VALU_DEP_3)
	v_fma_f64 v[25:26], v[57:58], s[12:13], v[25:26]
	v_fma_f64 v[19:20], v[61:62], s[12:13], v[19:20]
	s_delay_alu instid0(VALU_DEP_3) | instskip(NEXT) | instid1(VALU_DEP_2)
	v_fma_f64 v[71:72], v[77:78], s[14:15], v[17:18]
	v_fma_f64 v[75:76], v[27:28], s[14:15], v[19:20]
	s_delay_alu instid0(VALU_DEP_2)
	v_add_f64 v[17:18], v[71:72], v[21:22]
	v_add_f64 v[21:22], v[71:72], -v[21:22]
	v_fma_f64 v[71:72], v[77:78], s[14:15], v[25:26]
	v_fma_f64 v[25:26], v[63:64], s[18:19], v[30:31]
	v_add_f64 v[19:20], v[75:76], v[23:24]
	v_add_f64 v[23:24], v[75:76], -v[23:24]
	s_delay_alu instid0(VALU_DEP_3) | instskip(NEXT) | instid1(VALU_DEP_1)
	v_fma_f64 v[25:26], v[61:62], s[16:17], v[25:26]
	v_fma_f64 v[31:32], v[27:28], s[14:15], v[25:26]
	;; [unrolled: 1-line block ×4, first 2 shown]
	s_delay_alu instid0(VALU_DEP_2) | instskip(NEXT) | instid1(VALU_DEP_2)
	v_fma_f64 v[25:26], v[49:50], s[16:17], v[25:26]
	v_fma_f64 v[27:28], v[53:54], s[12:13], v[27:28]
	s_delay_alu instid0(VALU_DEP_2) | instskip(NEXT) | instid1(VALU_DEP_2)
	v_fma_f64 v[25:26], v[69:70], s[14:15], v[25:26]
	v_fma_f64 v[27:28], v[67:68], s[14:15], v[27:28]
	s_delay_alu instid0(VALU_DEP_2) | instskip(SKIP_1) | instid1(VALU_DEP_2)
	v_mul_f64 v[29:30], v[25:26], s[20:21]
	v_mul_f64 v[25:26], v[25:26], s[24:25]
	v_fma_f64 v[29:30], v[27:28], s[24:25], v[29:30]
	s_delay_alu instid0(VALU_DEP_2) | instskip(NEXT) | instid1(VALU_DEP_2)
	v_fma_f64 v[65:66], v[27:28], s[18:19], v[25:26]
	v_add_f64 v[25:26], v[71:72], v[29:30]
	s_delay_alu instid0(VALU_DEP_2)
	v_add_f64 v[27:28], v[31:32], v[65:66]
	v_add_f64 v[29:30], v[71:72], -v[29:30]
	v_add_f64 v[31:32], v[31:32], -v[65:66]
	ds_store_b128 v184, v[0:3]
	ds_store_b128 v184, v[9:12] offset:144
	ds_store_b128 v184, v[17:20] offset:288
	;; [unrolled: 1-line block ×9, first 2 shown]
	s_waitcnt lgkmcnt(0)
	s_barrier
	buffer_gl0_inv
	s_clause 0x1
	scratch_load_b128 v[9:12], off, off offset:1180
	scratch_load_b128 v[16:19], off, off offset:1532
	ds_load_b128 v[0:3], v8 offset:8640
	scratch_load_b128 v[86:89], off, off offset:1576 ; 16-byte Folded Reload
	s_waitcnt vmcnt(2) lgkmcnt(0)
	v_mul_f64 v[4:5], v[11:12], v[2:3]
	s_delay_alu instid0(VALU_DEP_1) | instskip(SKIP_1) | instid1(VALU_DEP_1)
	v_fma_f64 v[94:95], v[9:10], v[0:1], v[4:5]
	v_mul_f64 v[0:1], v[11:12], v[0:1]
	v_fma_f64 v[96:97], v[9:10], v[2:3], -v[0:1]
	scratch_load_b128 v[9:12], off, off offset:1196 ; 16-byte Folded Reload
	ds_load_b128 v[0:3], v8 offset:17280
	s_waitcnt vmcnt(0) lgkmcnt(0)
	v_mul_f64 v[4:5], v[11:12], v[2:3]
	s_delay_alu instid0(VALU_DEP_1) | instskip(SKIP_1) | instid1(VALU_DEP_1)
	v_fma_f64 v[98:99], v[9:10], v[0:1], v[4:5]
	v_mul_f64 v[0:1], v[11:12], v[0:1]
	v_fma_f64 v[100:101], v[9:10], v[2:3], -v[0:1]
	scratch_load_b128 v[9:12], off, off offset:1212 ; 16-byte Folded Reload
	ds_load_b128 v[0:3], v8 offset:25920
	;; [unrolled: 8-line block ×20, first 2 shown]
	s_waitcnt vmcnt(0) lgkmcnt(0)
	v_mul_f64 v[4:5], v[11:12], v[2:3]
	s_delay_alu instid0(VALU_DEP_1)
	v_fma_f64 v[4:5], v[9:10], v[0:1], v[4:5]
	v_mul_f64 v[0:1], v[11:12], v[0:1]
	scratch_load_b128 v[11:14], off, off offset:1516 ; 16-byte Folded Reload
	v_fma_f64 v[6:7], v[9:10], v[2:3], -v[0:1]
	ds_load_b128 v[0:3], v8 offset:24192
	s_waitcnt vmcnt(0) lgkmcnt(0)
	v_mul_f64 v[9:10], v[13:14], v[2:3]
	s_delay_alu instid0(VALU_DEP_1) | instskip(SKIP_1) | instid1(VALU_DEP_1)
	v_fma_f64 v[84:85], v[11:12], v[0:1], v[9:10]
	v_mul_f64 v[0:1], v[13:14], v[0:1]
	v_fma_f64 v[10:11], v[11:12], v[2:3], -v[0:1]
	ds_load_b128 v[0:3], v8 offset:32832
	s_waitcnt lgkmcnt(0)
	v_mul_f64 v[12:13], v[18:19], v[2:3]
	s_delay_alu instid0(VALU_DEP_1)
	v_fma_f64 v[14:15], v[16:17], v[0:1], v[12:13]
	v_mul_f64 v[0:1], v[18:19], v[0:1]
	scratch_load_b128 v[18:21], off, off offset:1548 ; 16-byte Folded Reload
	v_fma_f64 v[12:13], v[16:17], v[2:3], -v[0:1]
	ds_load_b128 v[0:3], v8 offset:41472
	s_waitcnt vmcnt(0) lgkmcnt(0)
	v_mul_f64 v[16:17], v[20:21], v[2:3]
	s_delay_alu instid0(VALU_DEP_1) | instskip(SKIP_1) | instid1(VALU_DEP_1)
	v_fma_f64 v[16:17], v[18:19], v[0:1], v[16:17]
	v_mul_f64 v[0:1], v[20:21], v[0:1]
	v_fma_f64 v[18:19], v[18:19], v[2:3], -v[0:1]
	ds_load_b128 v[0:3], v8 offset:50112
	s_waitcnt lgkmcnt(0)
	v_mul_f64 v[20:21], v[88:89], v[2:3]
	s_delay_alu instid0(VALU_DEP_1) | instskip(SKIP_1) | instid1(VALU_DEP_1)
	v_fma_f64 v[22:23], v[86:87], v[0:1], v[20:21]
	v_mul_f64 v[0:1], v[88:89], v[0:1]
	v_fma_f64 v[20:21], v[86:87], v[2:3], -v[0:1]
	v_add_f64 v[86:87], v[98:99], v[106:107]
	ds_load_b128 v[0:3], v8
	s_waitcnt lgkmcnt(0)
	v_fma_f64 v[114:115], v[86:87], -0.5, v[0:1]
	v_add_f64 v[86:87], v[100:101], v[108:109]
	v_add_f64 v[0:1], v[0:1], v[98:99]
	s_delay_alu instid0(VALU_DEP_2) | instskip(SKIP_2) | instid1(VALU_DEP_4)
	v_fma_f64 v[116:117], v[86:87], -0.5, v[2:3]
	v_add_f64 v[86:87], v[94:95], v[102:103]
	v_add_f64 v[2:3], v[2:3], v[100:101]
	;; [unrolled: 1-line block ×3, first 2 shown]
	v_add_f64 v[106:107], v[98:99], -v[106:107]
	s_delay_alu instid0(VALU_DEP_4) | instskip(SKIP_3) | instid1(VALU_DEP_3)
	v_add_f64 v[90:91], v[86:87], v[110:111]
	v_add_f64 v[86:87], v[96:97], v[104:105]
	;; [unrolled: 1-line block ×3, first 2 shown]
	v_add_f64 v[108:109], v[100:101], -v[108:109]
	v_add_f64 v[92:93], v[86:87], v[112:113]
	v_add_f64 v[86:87], v[0:1], v[90:91]
	v_add_f64 v[90:91], v[0:1], -v[90:91]
	v_add_f64 v[0:1], v[102:103], v[110:111]
	s_delay_alu instid0(VALU_DEP_4)
	v_add_f64 v[88:89], v[2:3], v[92:93]
	v_add_f64 v[92:93], v[2:3], -v[92:93]
	v_add_f64 v[2:3], v[102:103], -v[110:111]
	v_add_f64 v[102:103], v[104:105], v[112:113]
	v_add_f64 v[104:105], v[104:105], -v[112:113]
	v_fma_f64 v[0:1], v[0:1], -0.5, v[94:95]
	v_fma_f64 v[112:113], v[106:107], s[2:3], v[116:117]
	s_delay_alu instid0(VALU_DEP_4) | instskip(NEXT) | instid1(VALU_DEP_3)
	v_fma_f64 v[102:103], v[102:103], -0.5, v[96:97]
	v_fma_f64 v[98:99], v[104:105], s[8:9], v[0:1]
	v_fma_f64 v[0:1], v[104:105], s[2:3], v[0:1]
	s_delay_alu instid0(VALU_DEP_3) | instskip(SKIP_1) | instid1(VALU_DEP_2)
	v_fma_f64 v[94:95], v[2:3], s[2:3], v[102:103]
	v_fma_f64 v[2:3], v[2:3], s[8:9], v[102:103]
	v_mul_f64 v[96:97], v[94:95], s[8:9]
	v_mul_f64 v[94:95], v[94:95], 0.5
	s_delay_alu instid0(VALU_DEP_3) | instskip(SKIP_1) | instid1(VALU_DEP_4)
	v_mul_f64 v[102:103], v[2:3], s[8:9]
	v_mul_f64 v[2:3], v[2:3], -0.5
	v_fma_f64 v[100:101], v[98:99], 0.5, v[96:97]
	s_delay_alu instid0(VALU_DEP_4) | instskip(SKIP_2) | instid1(VALU_DEP_3)
	v_fma_f64 v[110:111], v[98:99], s[2:3], v[94:95]
	v_fma_f64 v[98:99], v[108:109], s[8:9], v[114:115]
	;; [unrolled: 1-line block ×3, first 2 shown]
	v_add_f64 v[96:97], v[112:113], v[110:111]
	s_delay_alu instid0(VALU_DEP_3)
	v_add_f64 v[94:95], v[98:99], v[100:101]
	v_add_f64 v[98:99], v[98:99], -v[100:101]
	v_add_f64 v[100:101], v[112:113], -v[110:111]
	v_fma_f64 v[110:111], v[106:107], s[8:9], v[116:117]
	v_fma_f64 v[106:107], v[0:1], -0.5, v[102:103]
	v_fma_f64 v[0:1], v[0:1], s[2:3], v[2:3]
	s_delay_alu instid0(VALU_DEP_2) | instskip(NEXT) | instid1(VALU_DEP_2)
	v_add_f64 v[102:103], v[108:109], v[106:107]
	v_add_f64 v[104:105], v[110:111], v[0:1]
	v_add_f64 v[106:107], v[108:109], -v[106:107]
	v_add_f64 v[108:109], v[110:111], -v[0:1]
	ds_load_b128 v[110:113], v8 offset:1728
	ds_load_b128 v[114:117], v8 offset:3456
	;; [unrolled: 1-line block ×4, first 2 shown]
	s_waitcnt lgkmcnt(0)
	s_barrier
	buffer_gl0_inv
	scratch_load_b32 v9, off, off offset:1808 ; 4-byte Folded Reload
	s_waitcnt vmcnt(0)
	ds_store_b128 v9, v[86:89]
	ds_store_b128 v9, v[90:93] offset:4320
	ds_store_b128 v9, v[94:97] offset:1440
	;; [unrolled: 1-line block ×5, first 2 shown]
	v_add_f64 v[86:87], v[68:69], v[76:77]
	scratch_load_b32 v9, off, off offset:1756 ; 4-byte Folded Reload
	v_add_f64 v[88:89], v[112:113], v[70:71]
	v_fma_f64 v[94:95], v[86:87], -0.5, v[110:111]
	v_add_f64 v[86:87], v[70:71], v[78:79]
	s_delay_alu instid0(VALU_DEP_3) | instskip(SKIP_1) | instid1(VALU_DEP_3)
	v_add_f64 v[92:93], v[88:89], v[78:79]
	v_add_f64 v[78:79], v[70:71], -v[78:79]
	v_fma_f64 v[96:97], v[86:87], -0.5, v[112:113]
	v_add_f64 v[86:87], v[110:111], v[68:69]
	s_delay_alu instid0(VALU_DEP_1) | instskip(SKIP_2) | instid1(VALU_DEP_2)
	v_add_f64 v[90:91], v[86:87], v[76:77]
	v_add_f64 v[86:87], v[64:65], v[74:75]
	v_add_f64 v[76:77], v[68:69], -v[76:77]
	v_add_f64 v[98:99], v[86:87], v[82:83]
	v_add_f64 v[86:87], v[66:67], v[72:73]
	s_delay_alu instid0(VALU_DEP_1) | instskip(NEXT) | instid1(VALU_DEP_3)
	v_add_f64 v[100:101], v[86:87], v[80:81]
	v_add_f64 v[86:87], v[90:91], v[98:99]
	v_add_f64 v[90:91], v[90:91], -v[98:99]
	v_add_f64 v[98:99], v[74:75], v[82:83]
	v_add_f64 v[74:75], v[74:75], -v[82:83]
	v_add_f64 v[82:83], v[72:73], v[80:81]
	v_add_f64 v[72:73], v[72:73], -v[80:81]
	v_add_f64 v[88:89], v[92:93], v[100:101]
	v_add_f64 v[92:93], v[92:93], -v[100:101]
	v_fma_f64 v[100:101], v[76:77], s[2:3], v[96:97]
	v_fma_f64 v[80:81], v[98:99], -0.5, v[64:65]
	v_fma_f64 v[82:83], v[82:83], -0.5, v[66:67]
	s_delay_alu instid0(VALU_DEP_2) | instskip(SKIP_1) | instid1(VALU_DEP_3)
	v_fma_f64 v[68:69], v[72:73], s[8:9], v[80:81]
	v_fma_f64 v[72:73], v[72:73], s[2:3], v[80:81]
	;; [unrolled: 1-line block ×5, first 2 shown]
	s_delay_alu instid0(VALU_DEP_3) | instskip(SKIP_1) | instid1(VALU_DEP_4)
	v_mul_f64 v[66:67], v[64:65], s[8:9]
	v_mul_f64 v[64:65], v[64:65], 0.5
	v_mul_f64 v[76:77], v[74:75], s[8:9]
	v_mul_f64 v[74:75], v[74:75], -0.5
	s_delay_alu instid0(VALU_DEP_4) | instskip(NEXT) | instid1(VALU_DEP_4)
	v_fma_f64 v[70:71], v[68:69], 0.5, v[66:67]
	v_fma_f64 v[98:99], v[68:69], s[2:3], v[64:65]
	v_fma_f64 v[68:69], v[78:79], s[8:9], v[94:95]
	;; [unrolled: 1-line block ×3, first 2 shown]
	v_fma_f64 v[76:77], v[72:73], -0.5, v[76:77]
	v_fma_f64 v[80:81], v[72:73], s[2:3], v[74:75]
	v_add_f64 v[66:67], v[100:101], v[98:99]
	v_add_f64 v[64:65], v[68:69], v[70:71]
	v_add_f64 v[68:69], v[68:69], -v[70:71]
	v_add_f64 v[72:73], v[78:79], v[76:77]
	v_add_f64 v[74:75], v[82:83], v[80:81]
	v_add_f64 v[70:71], v[100:101], -v[98:99]
	v_add_f64 v[76:77], v[78:79], -v[76:77]
	v_add_f64 v[78:79], v[82:83], -v[80:81]
	s_waitcnt vmcnt(0)
	ds_store_b128 v9, v[86:89]
	ds_store_b128 v9, v[64:67] offset:1440
	ds_store_b128 v9, v[72:75] offset:2880
	;; [unrolled: 1-line block ×5, first 2 shown]
	v_add_f64 v[64:65], v[48:49], v[56:57]
	v_add_f64 v[66:67], v[116:117], v[50:51]
	s_delay_alu instid0(VALU_DEP_2) | instskip(SKIP_1) | instid1(VALU_DEP_3)
	v_fma_f64 v[72:73], v[64:65], -0.5, v[114:115]
	v_add_f64 v[64:65], v[50:51], v[58:59]
	v_add_f64 v[70:71], v[66:67], v[58:59]
	v_add_f64 v[58:59], v[50:51], -v[58:59]
	s_delay_alu instid0(VALU_DEP_3) | instskip(SKIP_1) | instid1(VALU_DEP_1)
	v_fma_f64 v[74:75], v[64:65], -0.5, v[116:117]
	v_add_f64 v[64:65], v[114:115], v[48:49]
	v_add_f64 v[68:69], v[64:65], v[56:57]
	v_add_f64 v[64:65], v[44:45], v[54:55]
	v_add_f64 v[56:57], v[48:49], -v[56:57]
	s_delay_alu instid0(VALU_DEP_2) | instskip(SKIP_1) | instid1(VALU_DEP_1)
	v_add_f64 v[76:77], v[64:65], v[62:63]
	v_add_f64 v[64:65], v[46:47], v[52:53]
	;; [unrolled: 1-line block ×3, first 2 shown]
	s_delay_alu instid0(VALU_DEP_3)
	v_add_f64 v[64:65], v[68:69], v[76:77]
	v_add_f64 v[68:69], v[68:69], -v[76:77]
	v_add_f64 v[76:77], v[54:55], v[62:63]
	v_add_f64 v[54:55], v[54:55], -v[62:63]
	;; [unrolled: 2-line block ×4, first 2 shown]
	v_fma_f64 v[78:79], v[56:57], s[2:3], v[74:75]
	v_fma_f64 v[60:61], v[76:77], -0.5, v[44:45]
	v_fma_f64 v[62:63], v[62:63], -0.5, v[46:47]
	s_delay_alu instid0(VALU_DEP_2) | instskip(SKIP_1) | instid1(VALU_DEP_3)
	v_fma_f64 v[48:49], v[52:53], s[8:9], v[60:61]
	v_fma_f64 v[52:53], v[52:53], s[2:3], v[60:61]
	v_fma_f64 v[44:45], v[54:55], s[2:3], v[62:63]
	v_fma_f64 v[54:55], v[54:55], s[8:9], v[62:63]
	v_fma_f64 v[62:63], v[56:57], s[8:9], v[74:75]
	s_delay_alu instid0(VALU_DEP_3) | instskip(SKIP_1) | instid1(VALU_DEP_4)
	v_mul_f64 v[46:47], v[44:45], s[8:9]
	v_mul_f64 v[44:45], v[44:45], 0.5
	v_mul_f64 v[56:57], v[54:55], s[8:9]
	v_mul_f64 v[54:55], v[54:55], -0.5
	s_delay_alu instid0(VALU_DEP_4) | instskip(NEXT) | instid1(VALU_DEP_4)
	v_fma_f64 v[50:51], v[48:49], 0.5, v[46:47]
	v_fma_f64 v[76:77], v[48:49], s[2:3], v[44:45]
	v_fma_f64 v[48:49], v[58:59], s[8:9], v[72:73]
	;; [unrolled: 1-line block ×3, first 2 shown]
	v_fma_f64 v[56:57], v[52:53], -0.5, v[56:57]
	v_fma_f64 v[60:61], v[52:53], s[2:3], v[54:55]
	v_add_f64 v[46:47], v[78:79], v[76:77]
	v_add_f64 v[44:45], v[48:49], v[50:51]
	v_add_f64 v[48:49], v[48:49], -v[50:51]
	v_add_f64 v[52:53], v[58:59], v[56:57]
	v_add_f64 v[54:55], v[62:63], v[60:61]
	v_add_f64 v[50:51], v[78:79], -v[76:77]
	v_add_f64 v[56:57], v[58:59], -v[56:57]
	;; [unrolled: 1-line block ×3, first 2 shown]
	ds_store_b128 v207, v[64:67]
	ds_store_b128 v207, v[44:47] offset:1440
	ds_store_b128 v207, v[52:55] offset:2880
	;; [unrolled: 1-line block ×5, first 2 shown]
	v_add_f64 v[44:45], v[28:29], v[36:37]
	scratch_load_b32 v9, off, off offset:1656 ; 4-byte Folded Reload
	v_add_f64 v[46:47], v[120:121], v[30:31]
	v_fma_f64 v[52:53], v[44:45], -0.5, v[118:119]
	v_add_f64 v[44:45], v[30:31], v[38:39]
	s_delay_alu instid0(VALU_DEP_3) | instskip(SKIP_1) | instid1(VALU_DEP_3)
	v_add_f64 v[50:51], v[46:47], v[38:39]
	v_add_f64 v[38:39], v[30:31], -v[38:39]
	v_fma_f64 v[54:55], v[44:45], -0.5, v[120:121]
	v_add_f64 v[44:45], v[118:119], v[28:29]
	s_delay_alu instid0(VALU_DEP_1) | instskip(SKIP_2) | instid1(VALU_DEP_2)
	v_add_f64 v[48:49], v[44:45], v[36:37]
	v_add_f64 v[44:45], v[24:25], v[34:35]
	v_add_f64 v[36:37], v[28:29], -v[36:37]
	v_add_f64 v[56:57], v[44:45], v[42:43]
	v_add_f64 v[44:45], v[26:27], v[32:33]
	s_delay_alu instid0(VALU_DEP_1) | instskip(NEXT) | instid1(VALU_DEP_3)
	v_add_f64 v[58:59], v[44:45], v[40:41]
	v_add_f64 v[44:45], v[48:49], v[56:57]
	v_add_f64 v[48:49], v[48:49], -v[56:57]
	v_add_f64 v[56:57], v[34:35], v[42:43]
	v_add_f64 v[34:35], v[34:35], -v[42:43]
	;; [unrolled: 2-line block ×4, first 2 shown]
	v_fma_f64 v[58:59], v[36:37], s[2:3], v[54:55]
	v_fma_f64 v[40:41], v[56:57], -0.5, v[24:25]
	v_fma_f64 v[42:43], v[42:43], -0.5, v[26:27]
	s_delay_alu instid0(VALU_DEP_2) | instskip(SKIP_1) | instid1(VALU_DEP_3)
	v_fma_f64 v[28:29], v[32:33], s[8:9], v[40:41]
	v_fma_f64 v[32:33], v[32:33], s[2:3], v[40:41]
	;; [unrolled: 1-line block ×5, first 2 shown]
	s_delay_alu instid0(VALU_DEP_3) | instskip(SKIP_1) | instid1(VALU_DEP_4)
	v_mul_f64 v[26:27], v[24:25], s[8:9]
	v_mul_f64 v[24:25], v[24:25], 0.5
	v_mul_f64 v[36:37], v[34:35], s[8:9]
	v_mul_f64 v[34:35], v[34:35], -0.5
	s_delay_alu instid0(VALU_DEP_4) | instskip(NEXT) | instid1(VALU_DEP_4)
	v_fma_f64 v[30:31], v[28:29], 0.5, v[26:27]
	v_fma_f64 v[56:57], v[28:29], s[2:3], v[24:25]
	v_fma_f64 v[28:29], v[38:39], s[8:9], v[52:53]
	;; [unrolled: 1-line block ×3, first 2 shown]
	v_fma_f64 v[36:37], v[32:33], -0.5, v[36:37]
	v_fma_f64 v[40:41], v[32:33], s[2:3], v[34:35]
	v_add_f64 v[26:27], v[58:59], v[56:57]
	v_add_f64 v[24:25], v[28:29], v[30:31]
	v_add_f64 v[28:29], v[28:29], -v[30:31]
	v_add_f64 v[32:33], v[38:39], v[36:37]
	v_add_f64 v[34:35], v[42:43], v[40:41]
	v_add_f64 v[30:31], v[58:59], -v[56:57]
	v_add_f64 v[36:37], v[38:39], -v[36:37]
	;; [unrolled: 1-line block ×3, first 2 shown]
	s_waitcnt vmcnt(0)
	ds_store_b128 v9, v[44:47]
	ds_store_b128 v9, v[24:27] offset:1440
	ds_store_b128 v9, v[32:35] offset:2880
	;; [unrolled: 1-line block ×5, first 2 shown]
	v_add_f64 v[24:25], v[84:85], v[16:17]
	s_delay_alu instid0(VALU_DEP_1) | instskip(SKIP_2) | instid1(VALU_DEP_2)
	v_fma_f64 v[28:29], v[24:25], -0.5, v[0:1]
	v_add_f64 v[24:25], v[10:11], v[18:19]
	v_add_f64 v[0:1], v[0:1], v[84:85]
	v_fma_f64 v[30:31], v[24:25], -0.5, v[2:3]
	s_delay_alu instid0(VALU_DEP_2) | instskip(SKIP_3) | instid1(VALU_DEP_3)
	v_add_f64 v[24:25], v[0:1], v[16:17]
	v_add_f64 v[0:1], v[4:5], v[14:15]
	;; [unrolled: 1-line block ×3, first 2 shown]
	v_add_f64 v[16:17], v[84:85], -v[16:17]
	v_add_f64 v[32:33], v[0:1], v[22:23]
	v_add_f64 v[0:1], v[6:7], v[12:13]
	s_delay_alu instid0(VALU_DEP_4) | instskip(SKIP_2) | instid1(VALU_DEP_4)
	v_add_f64 v[26:27], v[2:3], v[18:19]
	v_add_f64 v[18:19], v[10:11], -v[18:19]
	v_fma_f64 v[36:37], v[16:17], s[2:3], v[30:31]
	v_add_f64 v[34:35], v[0:1], v[20:21]
	v_add_f64 v[0:1], v[24:25], v[32:33]
	v_add_f64 v[24:25], v[24:25], -v[32:33]
	v_add_f64 v[32:33], v[14:15], v[22:23]
	v_add_f64 v[14:15], v[14:15], -v[22:23]
	;; [unrolled: 2-line block ×4, first 2 shown]
	v_fma_f64 v[32:33], v[32:33], -0.5, v[4:5]
	v_fma_f64 v[22:23], v[22:23], -0.5, v[6:7]
	s_delay_alu instid0(VALU_DEP_2) | instskip(NEXT) | instid1(VALU_DEP_2)
	v_fma_f64 v[9:10], v[20:21], s[8:9], v[32:33]
	v_fma_f64 v[4:5], v[14:15], s[2:3], v[22:23]
	;; [unrolled: 1-line block ×5, first 2 shown]
	s_delay_alu instid0(VALU_DEP_4) | instskip(SKIP_3) | instid1(VALU_DEP_4)
	v_mul_f64 v[6:7], v[4:5], s[8:9]
	v_mul_f64 v[4:5], v[4:5], 0.5
	v_mul_f64 v[20:21], v[13:14], s[8:9]
	v_mul_f64 v[13:14], v[13:14], -0.5
	v_fma_f64 v[11:12], v[9:10], 0.5, v[6:7]
	s_delay_alu instid0(VALU_DEP_4)
	v_fma_f64 v[34:35], v[9:10], s[2:3], v[4:5]
	v_fma_f64 v[9:10], v[18:19], s[8:9], v[28:29]
	;; [unrolled: 1-line block ×3, first 2 shown]
	v_fma_f64 v[20:21], v[15:16], -0.5, v[20:21]
	v_fma_f64 v[28:29], v[15:16], s[2:3], v[13:14]
	v_add_f64 v[6:7], v[36:37], v[34:35]
	v_add_f64 v[4:5], v[9:10], v[11:12]
	v_add_f64 v[9:10], v[9:10], -v[11:12]
	v_add_f64 v[13:14], v[18:19], v[20:21]
	v_add_f64 v[17:18], v[18:19], -v[20:21]
	scratch_load_b32 v21, off, off offset:1572 ; 4-byte Folded Reload
	v_add_f64 v[15:16], v[22:23], v[28:29]
	v_add_f64 v[11:12], v[36:37], -v[34:35]
	v_add_f64 v[19:20], v[22:23], -v[28:29]
	s_waitcnt vmcnt(0)
	ds_store_b128 v21, v[0:3]
	ds_store_b128 v21, v[4:7] offset:1440
	ds_store_b128 v21, v[13:16] offset:2880
	;; [unrolled: 1-line block ×5, first 2 shown]
	s_waitcnt lgkmcnt(0)
	s_barrier
	buffer_gl0_inv
	s_clause 0x1
	scratch_load_b128 v[9:12], off, off offset:1640
	scratch_load_b128 v[102:105], off, off offset:1148
	ds_load_b128 v[0:3], v8 offset:8640
	scratch_load_b128 v[98:101], off, off offset:1812 ; 16-byte Folded Reload
	s_waitcnt vmcnt(2) lgkmcnt(0)
	v_mul_f64 v[4:5], v[11:12], v[2:3]
	s_delay_alu instid0(VALU_DEP_1)
	v_fma_f64 v[4:5], v[9:10], v[0:1], v[4:5]
	v_mul_f64 v[0:1], v[11:12], v[0:1]
	scratch_load_b128 v[11:14], off, off offset:1624 ; 16-byte Folded Reload
	v_fma_f64 v[6:7], v[9:10], v[2:3], -v[0:1]
	ds_load_b128 v[0:3], v8 offset:17280
	s_waitcnt vmcnt(0) lgkmcnt(0)
	v_mul_f64 v[9:10], v[13:14], v[2:3]
	s_delay_alu instid0(VALU_DEP_1) | instskip(SKIP_1) | instid1(VALU_DEP_1)
	v_fma_f64 v[92:93], v[11:12], v[0:1], v[9:10]
	v_mul_f64 v[0:1], v[13:14], v[0:1]
	v_fma_f64 v[84:85], v[11:12], v[2:3], -v[0:1]
	scratch_load_b128 v[11:14], off, off offset:1608 ; 16-byte Folded Reload
	ds_load_b128 v[0:3], v8 offset:25920
	s_waitcnt vmcnt(0) lgkmcnt(0)
	v_mul_f64 v[9:10], v[13:14], v[2:3]
	s_delay_alu instid0(VALU_DEP_1) | instskip(SKIP_1) | instid1(VALU_DEP_1)
	v_fma_f64 v[86:87], v[11:12], v[0:1], v[9:10]
	v_mul_f64 v[0:1], v[13:14], v[0:1]
	v_fma_f64 v[80:81], v[11:12], v[2:3], -v[0:1]
	scratch_load_b128 v[11:14], off, off offset:1592 ; 16-byte Folded Reload
	;; [unrolled: 8-line block ×7, first 2 shown]
	ds_load_b128 v[0:3], v8 offset:36288
	s_waitcnt vmcnt(0) lgkmcnt(0)
	v_mul_f64 v[9:10], v[13:14], v[2:3]
	s_delay_alu instid0(VALU_DEP_1) | instskip(SKIP_1) | instid1(VALU_DEP_2)
	v_fma_f64 v[62:63], v[11:12], v[0:1], v[9:10]
	v_mul_f64 v[0:1], v[13:14], v[0:1]
	v_add_f64 v[110:111], v[74:75], v[62:63]
	s_delay_alu instid0(VALU_DEP_2) | instskip(SKIP_4) | instid1(VALU_DEP_1)
	v_fma_f64 v[66:67], v[11:12], v[2:3], -v[0:1]
	scratch_load_b128 v[11:14], off, off offset:1740 ; 16-byte Folded Reload
	ds_load_b128 v[0:3], v8 offset:44928
	s_waitcnt vmcnt(0) lgkmcnt(0)
	v_mul_f64 v[9:10], v[13:14], v[2:3]
	v_fma_f64 v[96:97], v[11:12], v[0:1], v[9:10]
	v_mul_f64 v[0:1], v[13:14], v[0:1]
	s_delay_alu instid0(VALU_DEP_1) | instskip(SKIP_4) | instid1(VALU_DEP_1)
	v_fma_f64 v[68:69], v[11:12], v[2:3], -v[0:1]
	scratch_load_b128 v[11:14], off, off offset:1792 ; 16-byte Folded Reload
	ds_load_b128 v[0:3], v8 offset:12096
	s_waitcnt vmcnt(0) lgkmcnt(0)
	v_mul_f64 v[9:10], v[13:14], v[2:3]
	v_fma_f64 v[56:57], v[11:12], v[0:1], v[9:10]
	v_mul_f64 v[0:1], v[13:14], v[0:1]
	s_delay_alu instid0(VALU_DEP_1) | instskip(SKIP_4) | instid1(VALU_DEP_1)
	v_fma_f64 v[52:53], v[11:12], v[2:3], -v[0:1]
	scratch_load_b128 v[11:14], off, off offset:1776 ; 16-byte Folded Reload
	ds_load_b128 v[0:3], v8 offset:20736
	s_waitcnt lgkmcnt(0)
	v_mul_f64 v[9:10], v[254:255], v[2:3]
	v_fma_f64 v[54:55], v[252:253], v[0:1], v[9:10]
	v_mul_f64 v[0:1], v[254:255], v[0:1]
	s_delay_alu instid0(VALU_DEP_1) | instskip(SKIP_3) | instid1(VALU_DEP_1)
	v_fma_f64 v[40:41], v[252:253], v[2:3], -v[0:1]
	ds_load_b128 v[0:3], v8 offset:29376
	s_waitcnt vmcnt(0) lgkmcnt(0)
	v_mul_f64 v[9:10], v[13:14], v[2:3]
	v_fma_f64 v[64:65], v[11:12], v[0:1], v[9:10]
	v_mul_f64 v[0:1], v[13:14], v[0:1]
	s_delay_alu instid0(VALU_DEP_1) | instskip(SKIP_4) | instid1(VALU_DEP_1)
	v_fma_f64 v[42:43], v[11:12], v[2:3], -v[0:1]
	scratch_load_b128 v[11:14], off, off offset:1760 ; 16-byte Folded Reload
	ds_load_b128 v[0:3], v8 offset:38016
	s_waitcnt vmcnt(0) lgkmcnt(0)
	v_mul_f64 v[9:10], v[13:14], v[2:3]
	v_fma_f64 v[44:45], v[11:12], v[0:1], v[9:10]
	v_mul_f64 v[0:1], v[13:14], v[0:1]
	s_delay_alu instid0(VALU_DEP_2) | instskip(NEXT) | instid1(VALU_DEP_2)
	v_add_f64 v[118:119], v[54:55], v[44:45]
	v_fma_f64 v[46:47], v[11:12], v[2:3], -v[0:1]
	ds_load_b128 v[0:3], v8 offset:46656
	s_waitcnt lgkmcnt(0)
	v_mul_f64 v[9:10], v[205:206], v[2:3]
	s_delay_alu instid0(VALU_DEP_1) | instskip(SKIP_1) | instid1(VALU_DEP_1)
	v_fma_f64 v[50:51], v[203:204], v[0:1], v[9:10]
	v_mul_f64 v[0:1], v[205:206], v[0:1]
	v_fma_f64 v[48:49], v[203:204], v[2:3], -v[0:1]
	ds_load_b128 v[0:3], v8 offset:13824
	s_waitcnt lgkmcnt(0)
	v_mul_f64 v[9:10], v[201:202], v[2:3]
	s_delay_alu instid0(VALU_DEP_1) | instskip(SKIP_1) | instid1(VALU_DEP_1)
	v_fma_f64 v[36:37], v[199:200], v[0:1], v[9:10]
	v_mul_f64 v[0:1], v[201:202], v[0:1]
	;; [unrolled: 7-line block ×4, first 2 shown]
	v_fma_f64 v[20:21], v[187:188], v[2:3], -v[0:1]
	ds_load_b128 v[0:3], v8 offset:39744
	s_waitcnt lgkmcnt(0)
	v_mul_f64 v[9:10], v[193:194], v[2:3]
	s_delay_alu instid0(VALU_DEP_1) | instskip(SKIP_1) | instid1(VALU_DEP_2)
	v_fma_f64 v[22:23], v[191:192], v[0:1], v[9:10]
	v_mul_f64 v[0:1], v[193:194], v[0:1]
	v_add_f64 v[126:127], v[34:35], v[22:23]
	s_delay_alu instid0(VALU_DEP_2) | instskip(SKIP_3) | instid1(VALU_DEP_1)
	v_fma_f64 v[24:25], v[191:192], v[2:3], -v[0:1]
	ds_load_b128 v[0:3], v8 offset:48384
	s_waitcnt lgkmcnt(0)
	v_mul_f64 v[9:10], v[197:198], v[2:3]
	v_fma_f64 v[70:71], v[195:196], v[0:1], v[9:10]
	v_mul_f64 v[0:1], v[197:198], v[0:1]
	s_delay_alu instid0(VALU_DEP_1) | instskip(SKIP_3) | instid1(VALU_DEP_1)
	v_fma_f64 v[26:27], v[195:196], v[2:3], -v[0:1]
	ds_load_b128 v[0:3], v8 offset:15552
	s_waitcnt lgkmcnt(0)
	v_mul_f64 v[9:10], v[157:158], v[2:3]
	v_fma_f64 v[18:19], v[155:156], v[0:1], v[9:10]
	v_mul_f64 v[0:1], v[157:158], v[0:1]
	s_delay_alu instid0(VALU_DEP_1) | instskip(SKIP_3) | instid1(VALU_DEP_1)
	;; [unrolled: 7-line block ×3, first 2 shown]
	v_fma_f64 v[30:31], v[151:152], v[2:3], -v[0:1]
	ds_load_b128 v[0:3], v8 offset:32832
	s_waitcnt lgkmcnt(0)
	v_mul_f64 v[10:11], v[100:101], v[2:3]
	v_fma_f64 v[10:11], v[98:99], v[0:1], v[10:11]
	v_mul_f64 v[0:1], v[100:101], v[0:1]
	s_delay_alu instid0(VALU_DEP_1)
	v_fma_f64 v[0:1], v[98:99], v[2:3], -v[0:1]
	ds_load_b128 v[98:101], v8 offset:41472
	s_waitcnt lgkmcnt(0)
	v_mul_f64 v[2:3], v[104:105], v[100:101]
	v_mul_f64 v[28:29], v[104:105], v[98:99]
	scratch_load_b128 v[104:107], off, off offset:1164 ; 16-byte Folded Reload
	v_fma_f64 v[2:3], v[102:103], v[98:99], v[2:3]
	v_fma_f64 v[28:29], v[102:103], v[100:101], -v[28:29]
	ds_load_b128 v[98:101], v8 offset:50112
	v_add_f64 v[134:135], v[14:15], v[2:3]
	s_waitcnt vmcnt(0) lgkmcnt(0)
	v_mul_f64 v[102:103], v[106:107], v[100:101]
	s_delay_alu instid0(VALU_DEP_1) | instskip(SKIP_2) | instid1(VALU_DEP_2)
	v_fma_f64 v[138:139], v[104:105], v[98:99], v[102:103]
	v_mul_f64 v[98:99], v[106:107], v[98:99]
	v_add_f64 v[102:103], v[92:93], v[82:83]
	v_fma_f64 v[140:141], v[104:105], v[100:101], -v[98:99]
	ds_load_b128 v[98:101], v8
	s_waitcnt lgkmcnt(0)
	v_fma_f64 v[142:143], v[102:103], -0.5, v[98:99]
	v_add_f64 v[102:103], v[84:85], v[88:89]
	v_add_f64 v[98:99], v[98:99], v[92:93]
	v_add_f64 v[92:93], v[92:93], -v[82:83]
	s_delay_alu instid0(VALU_DEP_3) | instskip(NEXT) | instid1(VALU_DEP_3)
	v_fma_f64 v[144:145], v[102:103], -0.5, v[100:101]
	v_add_f64 v[102:103], v[98:99], v[82:83]
	v_add_f64 v[98:99], v[4:5], v[86:87]
	;; [unrolled: 1-line block ×3, first 2 shown]
	v_add_f64 v[84:85], v[84:85], -v[88:89]
	s_delay_alu instid0(VALU_DEP_3) | instskip(SKIP_1) | instid1(VALU_DEP_4)
	v_add_f64 v[106:107], v[98:99], v[94:95]
	v_add_f64 v[98:99], v[6:7], v[80:81]
	;; [unrolled: 1-line block ×3, first 2 shown]
	v_add_f64 v[88:89], v[80:81], -v[90:91]
	s_delay_alu instid0(VALU_DEP_3) | instskip(SKIP_2) | instid1(VALU_DEP_3)
	v_add_f64 v[108:109], v[98:99], v[90:91]
	v_add_f64 v[98:99], v[102:103], v[106:107]
	v_add_f64 v[102:103], v[102:103], -v[106:107]
	v_add_f64 v[100:101], v[104:105], v[108:109]
	v_add_f64 v[104:105], v[104:105], -v[108:109]
	ds_load_b128 v[106:109], v8 offset:1728
	s_waitcnt lgkmcnt(0)
	v_fma_f64 v[146:147], v[110:111], -0.5, v[106:107]
	v_add_f64 v[110:111], v[58:59], v[66:67]
	v_add_f64 v[106:107], v[106:107], v[74:75]
	s_delay_alu instid0(VALU_DEP_2) | instskip(NEXT) | instid1(VALU_DEP_2)
	v_fma_f64 v[148:149], v[110:111], -0.5, v[108:109]
	v_add_f64 v[110:111], v[106:107], v[62:63]
	v_add_f64 v[106:107], v[76:77], v[78:79]
	;; [unrolled: 1-line block ×3, first 2 shown]
	v_add_f64 v[62:63], v[74:75], -v[62:63]
	v_add_f64 v[74:75], v[58:59], -v[66:67]
	s_delay_alu instid0(VALU_DEP_4) | instskip(SKIP_2) | instid1(VALU_DEP_2)
	v_add_f64 v[114:115], v[106:107], v[96:97]
	v_add_f64 v[106:107], v[72:73], v[60:61]
	;; [unrolled: 1-line block ×4, first 2 shown]
	s_delay_alu instid0(VALU_DEP_4) | instskip(SKIP_1) | instid1(VALU_DEP_3)
	v_add_f64 v[106:107], v[110:111], v[114:115]
	v_add_f64 v[110:111], v[110:111], -v[114:115]
	v_add_f64 v[108:109], v[112:113], v[116:117]
	v_add_f64 v[112:113], v[112:113], -v[116:117]
	ds_load_b128 v[114:117], v8 offset:3456
	s_waitcnt lgkmcnt(0)
	v_fma_f64 v[150:151], v[118:119], -0.5, v[114:115]
	v_add_f64 v[118:119], v[40:41], v[46:47]
	v_add_f64 v[114:115], v[114:115], v[54:55]
	v_add_f64 v[54:55], v[54:55], -v[44:45]
	s_delay_alu instid0(VALU_DEP_3) | instskip(NEXT) | instid1(VALU_DEP_3)
	v_fma_f64 v[152:153], v[118:119], -0.5, v[116:117]
	v_add_f64 v[118:119], v[114:115], v[44:45]
	v_add_f64 v[114:115], v[56:57], v[64:65]
	;; [unrolled: 1-line block ×3, first 2 shown]
	s_delay_alu instid0(VALU_DEP_2) | instskip(SKIP_1) | instid1(VALU_DEP_3)
	v_add_f64 v[122:123], v[114:115], v[50:51]
	v_add_f64 v[114:115], v[52:53], v[42:43]
	;; [unrolled: 1-line block ×3, first 2 shown]
	s_delay_alu instid0(VALU_DEP_2) | instskip(NEXT) | instid1(VALU_DEP_4)
	v_add_f64 v[124:125], v[114:115], v[48:49]
	v_add_f64 v[114:115], v[118:119], v[122:123]
	v_add_f64 v[118:119], v[118:119], -v[122:123]
	s_delay_alu instid0(VALU_DEP_3)
	v_add_f64 v[116:117], v[120:121], v[124:125]
	v_add_f64 v[120:121], v[120:121], -v[124:125]
	ds_load_b128 v[122:125], v8 offset:5184
	s_waitcnt lgkmcnt(0)
	v_fma_f64 v[154:155], v[126:127], -0.5, v[122:123]
	v_add_f64 v[126:127], v[16:17], v[24:25]
	v_add_f64 v[122:123], v[122:123], v[34:35]
	v_add_f64 v[34:35], v[34:35], -v[22:23]
	s_delay_alu instid0(VALU_DEP_3) | instskip(NEXT) | instid1(VALU_DEP_3)
	v_fma_f64 v[156:157], v[126:127], -0.5, v[124:125]
	v_add_f64 v[126:127], v[122:123], v[22:23]
	v_add_f64 v[122:123], v[36:37], v[38:39]
	;; [unrolled: 1-line block ×3, first 2 shown]
	v_add_f64 v[16:17], v[16:17], -v[24:25]
	s_delay_alu instid0(VALU_DEP_3) | instskip(SKIP_1) | instid1(VALU_DEP_4)
	v_add_f64 v[130:131], v[122:123], v[70:71]
	v_add_f64 v[122:123], v[32:33], v[20:21]
	;; [unrolled: 1-line block ×3, first 2 shown]
	s_delay_alu instid0(VALU_DEP_2) | instskip(NEXT) | instid1(VALU_DEP_4)
	v_add_f64 v[132:133], v[122:123], v[26:27]
	v_add_f64 v[122:123], v[126:127], v[130:131]
	v_add_f64 v[126:127], v[126:127], -v[130:131]
	s_delay_alu instid0(VALU_DEP_3)
	v_add_f64 v[124:125], v[128:129], v[132:133]
	v_add_f64 v[128:129], v[128:129], -v[132:133]
	ds_load_b128 v[130:133], v8 offset:6912
	s_waitcnt lgkmcnt(0)
	v_fma_f64 v[158:159], v[134:135], -0.5, v[130:131]
	v_add_f64 v[134:135], v[30:31], v[28:29]
	v_add_f64 v[130:131], v[130:131], v[14:15]
	s_delay_alu instid0(VALU_DEP_2) | instskip(NEXT) | instid1(VALU_DEP_2)
	v_fma_f64 v[160:161], v[134:135], -0.5, v[132:133]
	v_add_f64 v[134:135], v[130:131], v[2:3]
	v_add_f64 v[130:131], v[18:19], v[10:11]
	v_add_f64 v[132:133], v[132:133], v[30:31]
	s_delay_alu instid0(VALU_DEP_2) | instskip(SKIP_1) | instid1(VALU_DEP_3)
	v_add_f64 v[162:163], v[130:131], v[138:139]
	v_add_f64 v[130:131], v[12:13], v[0:1]
	;; [unrolled: 1-line block ×3, first 2 shown]
	v_add_f64 v[28:29], v[30:31], -v[28:29]
	v_add_f64 v[30:31], v[0:1], -v[140:141]
	s_delay_alu instid0(VALU_DEP_4)
	v_add_f64 v[164:165], v[130:131], v[140:141]
	v_add_f64 v[130:131], v[134:135], v[162:163]
	v_add_f64 v[134:135], v[134:135], -v[162:163]
	v_add_f64 v[162:163], v[86:87], v[94:95]
	v_add_f64 v[86:87], v[86:87], -v[94:95]
	v_add_f64 v[94:95], v[80:81], v[90:91]
	v_add_f64 v[132:133], v[136:137], v[164:165]
	v_add_f64 v[136:137], v[136:137], -v[164:165]
	v_fma_f64 v[164:165], v[92:93], s[2:3], v[144:145]
	v_fma_f64 v[90:91], v[162:163], -0.5, v[4:5]
	v_fma_f64 v[92:93], v[92:93], s[8:9], v[144:145]
	v_fma_f64 v[94:95], v[94:95], -0.5, v[6:7]
	s_delay_alu instid0(VALU_DEP_3) | instskip(NEXT) | instid1(VALU_DEP_2)
	v_fma_f64 v[80:81], v[88:89], s[8:9], v[90:91]
	v_fma_f64 v[4:5], v[86:87], s[2:3], v[94:95]
	;; [unrolled: 1-line block ×4, first 2 shown]
	s_delay_alu instid0(VALU_DEP_3) | instskip(SKIP_1) | instid1(VALU_DEP_2)
	v_mul_f64 v[6:7], v[4:5], s[8:9]
	v_mul_f64 v[4:5], v[4:5], 0.5
	v_fma_f64 v[82:83], v[80:81], 0.5, v[6:7]
	s_delay_alu instid0(VALU_DEP_2)
	v_fma_f64 v[162:163], v[80:81], s[2:3], v[4:5]
	v_fma_f64 v[80:81], v[84:85], s[8:9], v[142:143]
	;; [unrolled: 1-line block ×3, first 2 shown]
	v_mul_f64 v[88:89], v[86:87], s[8:9]
	v_mul_f64 v[86:87], v[86:87], -0.5
	v_add_f64 v[6:7], v[164:165], v[162:163]
	v_add_f64 v[4:5], v[80:81], v[82:83]
	v_add_f64 v[80:81], v[80:81], -v[82:83]
	v_fma_f64 v[88:89], v[84:85], -0.5, v[88:89]
	v_fma_f64 v[90:91], v[84:85], s[2:3], v[86:87]
	v_add_f64 v[82:83], v[164:165], -v[162:163]
	s_delay_alu instid0(VALU_DEP_3)
	v_add_f64 v[84:85], v[94:95], v[88:89]
	v_add_f64 v[88:89], v[94:95], -v[88:89]
	v_add_f64 v[94:95], v[60:61], v[68:69]
	v_add_f64 v[86:87], v[92:93], v[90:91]
	v_add_f64 v[90:91], v[92:93], -v[90:91]
	v_add_f64 v[92:93], v[78:79], v[96:97]
	v_add_f64 v[78:79], v[78:79], -v[96:97]
	v_fma_f64 v[96:97], v[62:63], s[2:3], v[148:149]
	v_fma_f64 v[62:63], v[62:63], s[8:9], v[148:149]
	v_fma_f64 v[72:73], v[94:95], -0.5, v[72:73]
	v_add_f64 v[94:95], v[60:61], -v[68:69]
	v_fma_f64 v[76:77], v[92:93], -0.5, v[76:77]
	s_delay_alu instid0(VALU_DEP_3) | instskip(SKIP_2) | instid1(VALU_DEP_4)
	v_fma_f64 v[58:59], v[78:79], s[2:3], v[72:73]
	v_fma_f64 v[72:73], v[78:79], s[8:9], v[72:73]
	;; [unrolled: 1-line block ×4, first 2 shown]
	s_delay_alu instid0(VALU_DEP_4) | instskip(SKIP_1) | instid1(VALU_DEP_2)
	v_mul_f64 v[60:61], v[58:59], s[8:9]
	v_mul_f64 v[58:59], v[58:59], 0.5
	v_fma_f64 v[68:69], v[66:67], 0.5, v[60:61]
	s_delay_alu instid0(VALU_DEP_2)
	v_fma_f64 v[92:93], v[66:67], s[2:3], v[58:59]
	v_fma_f64 v[66:67], v[74:75], s[8:9], v[146:147]
	;; [unrolled: 1-line block ×3, first 2 shown]
	v_mul_f64 v[76:77], v[72:73], s[8:9]
	v_mul_f64 v[72:73], v[72:73], -0.5
	v_add_f64 v[60:61], v[96:97], v[92:93]
	v_add_f64 v[58:59], v[66:67], v[68:69]
	v_add_f64 v[66:67], v[66:67], -v[68:69]
	v_add_f64 v[68:69], v[96:97], -v[92:93]
	v_fma_f64 v[76:77], v[74:75], -0.5, v[76:77]
	v_fma_f64 v[92:93], v[74:75], s[2:3], v[72:73]
	s_delay_alu instid0(VALU_DEP_2) | instskip(NEXT) | instid1(VALU_DEP_2)
	v_add_f64 v[72:73], v[78:79], v[76:77]
	v_add_f64 v[74:75], v[62:63], v[92:93]
	v_add_f64 v[76:77], v[78:79], -v[76:77]
	v_add_f64 v[78:79], v[62:63], -v[92:93]
	v_add_f64 v[62:63], v[64:65], v[50:51]
	v_add_f64 v[50:51], v[64:65], -v[50:51]
	v_add_f64 v[64:65], v[42:43], v[48:49]
	v_add_f64 v[48:49], v[42:43], -v[48:49]
	v_fma_f64 v[92:93], v[54:55], s[2:3], v[152:153]
	v_fma_f64 v[54:55], v[54:55], s[8:9], v[152:153]
	v_fma_f64 v[56:57], v[62:63], -0.5, v[56:57]
	v_fma_f64 v[52:53], v[64:65], -0.5, v[52:53]
	v_add_f64 v[64:65], v[40:41], -v[46:47]
	s_delay_alu instid0(VALU_DEP_3) | instskip(SKIP_1) | instid1(VALU_DEP_4)
	v_fma_f64 v[44:45], v[48:49], s[8:9], v[56:57]
	v_fma_f64 v[48:49], v[48:49], s[2:3], v[56:57]
	;; [unrolled: 1-line block ×5, first 2 shown]
	s_delay_alu instid0(VALU_DEP_3) | instskip(SKIP_1) | instid1(VALU_DEP_4)
	v_mul_f64 v[42:43], v[40:41], s[8:9]
	v_mul_f64 v[40:41], v[40:41], 0.5
	v_mul_f64 v[56:57], v[50:51], s[8:9]
	v_mul_f64 v[50:51], v[50:51], -0.5
	s_delay_alu instid0(VALU_DEP_4) | instskip(NEXT) | instid1(VALU_DEP_4)
	v_fma_f64 v[46:47], v[44:45], 0.5, v[42:43]
	v_fma_f64 v[62:63], v[44:45], s[2:3], v[40:41]
	v_fma_f64 v[44:45], v[64:65], s[8:9], v[150:151]
	v_fma_f64 v[56:57], v[48:49], -0.5, v[56:57]
	v_fma_f64 v[64:65], v[34:35], s[2:3], v[156:157]
	s_delay_alu instid0(VALU_DEP_4) | instskip(NEXT) | instid1(VALU_DEP_4)
	v_add_f64 v[42:43], v[92:93], v[62:63]
	v_add_f64 v[40:41], v[44:45], v[46:47]
	v_add_f64 v[44:45], v[44:45], -v[46:47]
	v_add_f64 v[46:47], v[92:93], -v[62:63]
	v_fma_f64 v[62:63], v[48:49], s[2:3], v[50:51]
	v_add_f64 v[48:49], v[52:53], v[56:57]
	v_add_f64 v[52:53], v[52:53], -v[56:57]
	v_add_f64 v[56:57], v[38:39], v[70:71]
	v_add_f64 v[38:39], v[38:39], -v[70:71]
	;; [unrolled: 2-line block ×3, first 2 shown]
	v_add_f64 v[62:63], v[20:21], v[26:27]
	v_fma_f64 v[36:37], v[56:57], -0.5, v[36:37]
	s_delay_alu instid0(VALU_DEP_2) | instskip(SKIP_1) | instid1(VALU_DEP_2)
	v_fma_f64 v[32:33], v[62:63], -0.5, v[32:33]
	v_add_f64 v[62:63], v[20:21], -v[26:27]
	v_fma_f64 v[20:21], v[38:39], s[2:3], v[32:33]
	s_delay_alu instid0(VALU_DEP_2)
	v_fma_f64 v[24:25], v[62:63], s[8:9], v[36:37]
	v_fma_f64 v[32:33], v[38:39], s[8:9], v[32:33]
	;; [unrolled: 1-line block ×4, first 2 shown]
	v_mul_f64 v[22:23], v[20:21], s[8:9]
	v_mul_f64 v[20:21], v[20:21], 0.5
	v_mul_f64 v[36:37], v[32:33], s[8:9]
	v_mul_f64 v[32:33], v[32:33], -0.5
	s_delay_alu instid0(VALU_DEP_4) | instskip(NEXT) | instid1(VALU_DEP_4)
	v_fma_f64 v[26:27], v[24:25], 0.5, v[22:23]
	v_fma_f64 v[56:57], v[24:25], s[2:3], v[20:21]
	v_fma_f64 v[24:25], v[16:17], s[8:9], v[154:155]
	;; [unrolled: 1-line block ×3, first 2 shown]
	v_fma_f64 v[36:37], v[34:35], -0.5, v[36:37]
	s_delay_alu instid0(VALU_DEP_4) | instskip(NEXT) | instid1(VALU_DEP_4)
	v_add_f64 v[22:23], v[64:65], v[56:57]
	v_add_f64 v[20:21], v[24:25], v[26:27]
	v_add_f64 v[24:25], v[24:25], -v[26:27]
	v_add_f64 v[26:27], v[64:65], -v[56:57]
	v_fma_f64 v[56:57], v[34:35], s[2:3], v[32:33]
	v_add_f64 v[32:33], v[16:17], v[36:37]
	v_add_f64 v[36:37], v[16:17], -v[36:37]
	v_add_f64 v[16:17], v[10:11], v[138:139]
	s_delay_alu instid0(VALU_DEP_4) | instskip(SKIP_3) | instid1(VALU_DEP_1)
	v_add_f64 v[34:35], v[38:39], v[56:57]
	v_add_f64 v[38:39], v[38:39], -v[56:57]
	v_add_f64 v[56:57], v[10:11], -v[138:139]
	v_add_f64 v[9:10], v[0:1], v[140:141]
	v_fma_f64 v[62:63], v[9:10], -0.5, v[12:13]
	v_add_f64 v[13:14], v[14:15], -v[2:3]
	v_fma_f64 v[15:16], v[16:17], -0.5, v[18:19]
	s_delay_alu instid0(VALU_DEP_3) | instskip(NEXT) | instid1(VALU_DEP_3)
	v_fma_f64 v[0:1], v[56:57], s[2:3], v[62:63]
	v_fma_f64 v[64:65], v[13:14], s[2:3], v[160:161]
	s_delay_alu instid0(VALU_DEP_3) | instskip(SKIP_4) | instid1(VALU_DEP_2)
	v_fma_f64 v[9:10], v[30:31], s[8:9], v[15:16]
	v_fma_f64 v[15:16], v[30:31], s[2:3], v[15:16]
	;; [unrolled: 1-line block ×3, first 2 shown]
	v_mul_f64 v[2:3], v[0:1], s[8:9]
	v_mul_f64 v[0:1], v[0:1], 0.5
	v_fma_f64 v[11:12], v[9:10], 0.5, v[2:3]
	s_delay_alu instid0(VALU_DEP_2) | instskip(SKIP_2) | instid1(VALU_DEP_3)
	v_fma_f64 v[17:18], v[9:10], s[2:3], v[0:1]
	v_fma_f64 v[9:10], v[28:29], s[8:9], v[158:159]
	;; [unrolled: 1-line block ×3, first 2 shown]
	v_add_f64 v[2:3], v[64:65], v[17:18]
	s_delay_alu instid0(VALU_DEP_3) | instskip(SKIP_3) | instid1(VALU_DEP_1)
	v_add_f64 v[0:1], v[9:10], v[11:12]
	v_add_f64 v[9:10], v[9:10], -v[11:12]
	v_add_f64 v[11:12], v[64:65], -v[17:18]
	v_fma_f64 v[17:18], v[56:57], s[8:9], v[62:63]
	v_mul_f64 v[13:14], v[17:18], s[8:9]
	v_mul_f64 v[17:18], v[17:18], -0.5
	s_delay_alu instid0(VALU_DEP_2) | instskip(NEXT) | instid1(VALU_DEP_2)
	v_fma_f64 v[56:57], v[15:16], -0.5, v[13:14]
	v_fma_f64 v[17:18], v[15:16], s[2:3], v[17:18]
	s_mul_i32 s2, s5, 0x4380
	s_mul_hi_u32 s3, s4, 0x4380
	s_delay_alu instid0(SALU_CYCLE_1) | instskip(SKIP_1) | instid1(SALU_CYCLE_1)
	s_add_i32 s3, s3, s2
	s_mul_hi_u32 s2, s4, 0xffff7fc0
	s_sub_i32 s2, s2, s4
	s_delay_alu instid0(VALU_DEP_2) | instskip(NEXT) | instid1(VALU_DEP_2)
	v_add_f64 v[13:14], v[28:29], v[56:57]
	v_add_f64 v[15:16], v[30:31], v[17:18]
	v_add_f64 v[28:29], v[28:29], -v[56:57]
	v_add_f64 v[30:31], v[30:31], -v[17:18]
	ds_store_b128 v8, v[98:101]
	ds_store_b128 v8, v[102:105] offset:25920
	ds_store_b128 v8, v[106:109] offset:1728
	;; [unrolled: 1-line block ×29, first 2 shown]
	s_waitcnt lgkmcnt(0)
	s_barrier
	buffer_gl0_inv
	s_clause 0x1
	scratch_load_b128 v[9:12], off, off offset:472
	scratch_load_b32 v87, off, off offset:488
	ds_load_b128 v[0:3], v8
	s_clause 0x11
	scratch_load_b128 v[15:18], off, off offset:344
	scratch_load_b128 v[51:54], off, off offset:328
	;; [unrolled: 1-line block ×18, first 2 shown]
	s_waitcnt vmcnt(19) lgkmcnt(0)
	v_mul_f64 v[4:5], v[11:12], v[2:3]
	s_delay_alu instid0(VALU_DEP_1)
	v_fma_f64 v[4:5], v[9:10], v[0:1], v[4:5]
	v_mul_f64 v[0:1], v[11:12], v[0:1]
	scratch_load_b128 v[11:14], off, off offset:392 ; 16-byte Folded Reload
	v_fma_f64 v[6:7], v[9:10], v[2:3], -v[0:1]
	ds_load_b128 v[0:3], v8 offset:17280
	s_waitcnt vmcnt(0) lgkmcnt(0)
	v_mul_f64 v[9:10], v[13:14], v[2:3]
	s_delay_alu instid0(VALU_DEP_1) | instskip(SKIP_1) | instid1(VALU_DEP_1)
	v_fma_f64 v[9:10], v[11:12], v[0:1], v[9:10]
	v_mul_f64 v[0:1], v[13:14], v[0:1]
	v_fma_f64 v[11:12], v[11:12], v[2:3], -v[0:1]
	ds_load_b128 v[0:3], v8 offset:34560
	s_waitcnt lgkmcnt(0)
	v_mul_f64 v[13:14], v[17:18], v[2:3]
	s_delay_alu instid0(VALU_DEP_1) | instskip(SKIP_1) | instid1(VALU_DEP_1)
	v_fma_f64 v[13:14], v[15:16], v[0:1], v[13:14]
	v_mul_f64 v[0:1], v[17:18], v[0:1]
	v_fma_f64 v[15:16], v[15:16], v[2:3], -v[0:1]
	ds_load_b128 v[0:3], v8 offset:1728
	s_waitcnt lgkmcnt(0)
	;; [unrolled: 7-line block ×18, first 2 shown]
	v_mul_f64 v[81:82], v[85:86], v[2:3]
	s_delay_alu instid0(VALU_DEP_1)
	v_fma_f64 v[81:82], v[83:84], v[0:1], v[81:82]
	v_mul_f64 v[0:1], v[85:86], v[0:1]
	scratch_load_b64 v[85:86], off, off     ; 8-byte Folded Reload
	v_fma_f64 v[83:84], v[83:84], v[2:3], -v[0:1]
	s_waitcnt vmcnt(0)
	v_mad_u64_u32 v[0:1], null, s6, v85, 0
	s_mul_i32 s6, s4, 0x4380
	s_delay_alu instid0(VALU_DEP_1) | instskip(NEXT) | instid1(VALU_DEP_1)
	v_mad_u64_u32 v[2:3], null, s7, v85, v[1:2]
	v_mov_b32_e32 v1, v2
	v_mad_u64_u32 v[2:3], null, s4, v87, 0
	s_mul_i32 s4, s4, 0xffff7fc0
	s_delay_alu instid0(VALU_DEP_2) | instskip(NEXT) | instid1(VALU_DEP_2)
	v_lshlrev_b64 v[0:1], 4, v[0:1]
	v_mad_u64_u32 v[85:86], null, s5, v87, v[3:4]
	s_mul_i32 s5, s5, 0xffff7fc0
	s_delay_alu instid0(SALU_CYCLE_1) | instskip(NEXT) | instid1(VALU_DEP_1)
	s_add_i32 s2, s2, s5
	v_mov_b32_e32 v3, v85
	s_delay_alu instid0(VALU_DEP_3) | instskip(SKIP_1) | instid1(VALU_DEP_3)
	v_add_co_u32 v85, vcc_lo, s0, v0
	v_add_co_ci_u32_e32 v86, vcc_lo, s1, v1, vcc_lo
	v_lshlrev_b64 v[0:1], 4, v[2:3]
	s_mov_b32 s0, 0x30abee4d
	s_mov_b32 s1, 0x3f343a27
	s_delay_alu instid0(SALU_CYCLE_1) | instskip(SKIP_1) | instid1(VALU_DEP_3)
	v_mul_f64 v[2:3], v[6:7], s[0:1]
	v_mul_f64 v[6:7], v[27:28], s[0:1]
	v_add_co_u32 v85, vcc_lo, v85, v0
	v_add_co_ci_u32_e32 v86, vcc_lo, v86, v1, vcc_lo
	v_mul_f64 v[0:1], v[4:5], s[0:1]
	s_delay_alu instid0(VALU_DEP_3) | instskip(NEXT) | instid1(VALU_DEP_3)
	v_add_co_u32 v4, vcc_lo, v85, s6
	v_add_co_ci_u32_e32 v5, vcc_lo, s3, v86, vcc_lo
	global_store_b128 v[85:86], v[0:3], off
	v_mul_f64 v[0:1], v[9:10], s[0:1]
	v_mul_f64 v[2:3], v[11:12], s[0:1]
	;; [unrolled: 1-line block ×5, first 2 shown]
	global_store_b128 v[4:5], v[0:3], off
	v_mul_f64 v[0:1], v[13:14], s[0:1]
	v_mul_f64 v[2:3], v[15:16], s[0:1]
	v_add_co_u32 v4, vcc_lo, v4, s6
	v_add_co_ci_u32_e32 v5, vcc_lo, s3, v5, vcc_lo
	v_mul_f64 v[13:14], v[33:34], s[0:1]
	v_mul_f64 v[15:16], v[35:36], s[0:1]
	global_store_b128 v[4:5], v[0:3], off
	v_mul_f64 v[0:1], v[17:18], s[0:1]
	v_mul_f64 v[2:3], v[19:20], s[0:1]
	v_add_co_u32 v17, vcc_lo, v4, s4
	v_add_co_ci_u32_e32 v18, vcc_lo, s2, v5, vcc_lo
	v_mul_f64 v[4:5], v[25:26], s[0:1]
	v_mul_f64 v[19:20], v[39:40], s[0:1]
	ds_load_b128 v[25:28], v8 offset:12096
	global_store_b128 v[17:18], v[0:3], off
	v_mul_f64 v[0:1], v[21:22], s[0:1]
	v_mul_f64 v[2:3], v[23:24], s[0:1]
	v_add_co_u32 v21, vcc_lo, v17, s6
	v_add_co_ci_u32_e32 v22, vcc_lo, s3, v18, vcc_lo
	v_mul_f64 v[17:18], v[37:38], s[0:1]
	s_delay_alu instid0(VALU_DEP_3) | instskip(NEXT) | instid1(VALU_DEP_3)
	v_add_co_u32 v23, vcc_lo, v21, s6
	v_add_co_ci_u32_e32 v24, vcc_lo, s3, v22, vcc_lo
	s_delay_alu instid0(VALU_DEP_2) | instskip(NEXT) | instid1(VALU_DEP_2)
	v_add_co_u32 v29, vcc_lo, v23, s4
	v_add_co_ci_u32_e32 v30, vcc_lo, s2, v24, vcc_lo
	s_delay_alu instid0(VALU_DEP_2) | instskip(NEXT) | instid1(VALU_DEP_2)
	;; [unrolled: 3-line block ×4, first 2 shown]
	v_add_co_u32 v37, vcc_lo, v35, s4
	v_add_co_ci_u32_e32 v38, vcc_lo, s2, v36, vcc_lo
	global_store_b128 v[21:22], v[0:3], off
	v_mul_f64 v[0:1], v[41:42], s[0:1]
	v_mul_f64 v[2:3], v[43:44], s[0:1]
	global_store_b128 v[23:24], v[4:7], off
	v_mul_f64 v[21:22], v[45:46], s[0:1]
	v_mul_f64 v[23:24], v[47:48], s[0:1]
	global_store_b128 v[29:30], v[9:12], off
	v_mul_f64 v[9:10], v[49:50], s[0:1]
	v_mul_f64 v[11:12], v[51:52], s[0:1]
	v_add_co_u32 v47, vcc_lo, v37, s6
	v_add_co_ci_u32_e32 v48, vcc_lo, s3, v38, vcc_lo
	global_store_b128 v[33:34], v[13:16], off
	global_store_b128 v[35:36], v[17:20], off
	s_clause 0x1
	scratch_load_b128 v[43:46], off, off offset:40
	scratch_load_b128 v[17:20], off, off offset:88
	ds_load_b128 v[13:16], v8 offset:29376
	ds_load_b128 v[4:7], v8 offset:44928
	v_mul_f64 v[29:30], v[53:54], s[0:1]
	v_mul_f64 v[33:34], v[61:62], s[0:1]
	;; [unrolled: 1-line block ×3, first 2 shown]
	global_store_b128 v[37:38], v[0:3], off
	v_add_co_u32 v37, vcc_lo, v47, s6
	v_add_co_ci_u32_e32 v38, vcc_lo, s3, v48, vcc_lo
	global_store_b128 v[47:48], v[21:24], off
	v_add_co_u32 v47, vcc_lo, v37, s4
	global_store_b128 v[37:38], v[9:12], off
	scratch_load_b128 v[9:12], off, off offset:56 ; 16-byte Folded Reload
	v_add_co_ci_u32_e32 v48, vcc_lo, s2, v38, vcc_lo
	v_add_co_u32 v53, vcc_lo, v47, s6
	ds_load_b128 v[0:3], v8 offset:46656
	v_add_co_ci_u32_e32 v54, vcc_lo, s3, v48, vcc_lo
	global_store_b128 v[47:48], v[29:32], off
	v_add_co_u32 v47, vcc_lo, v53, s6
	v_add_co_ci_u32_e32 v48, vcc_lo, s3, v54, vcc_lo
	ds_load_b128 v[21:24], v8 offset:50112
	ds_load_b128 v[29:32], v8 offset:31104
	s_waitcnt vmcnt(2)
	v_mov_b32_e32 v88, v44
	s_waitcnt vmcnt(1)
	v_mov_b32_e32 v92, v18
	s_waitcnt lgkmcnt(3)
	v_mul_f64 v[39:40], v[45:46], v[6:7]
	v_mul_f64 v[41:42], v[45:46], v[4:5]
	v_mov_b32_e32 v87, v43
	v_mul_f64 v[43:44], v[19:20], v[27:28]
	v_mul_f64 v[45:46], v[19:20], v[25:26]
	v_mov_b32_e32 v91, v17
	v_mul_f64 v[17:18], v[57:58], s[0:1]
	v_mul_f64 v[19:20], v[59:60], s[0:1]
	s_waitcnt vmcnt(0)
	v_mov_b32_e32 v86, v10
	v_mul_f64 v[49:50], v[11:12], v[15:16]
	v_mul_f64 v[51:52], v[11:12], v[13:14]
	v_mov_b32_e32 v85, v9
	scratch_load_b128 v[9:12], off, off offset:104 ; 16-byte Folded Reload
	v_fma_f64 v[59:60], v[87:88], v[4:5], v[39:40]
	v_fma_f64 v[61:62], v[87:88], v[6:7], -v[41:42]
	ds_load_b128 v[4:7], v8 offset:13824
	v_fma_f64 v[63:64], v[91:92], v[25:26], v[43:44]
	v_mul_f64 v[41:42], v[73:74], s[0:1]
	v_mul_f64 v[43:44], v[75:76], s[0:1]
	v_fma_f64 v[13:14], v[85:86], v[13:14], v[49:50]
	v_fma_f64 v[15:16], v[85:86], v[15:16], -v[51:52]
	s_waitcnt vmcnt(0)
	v_dual_mov_b32 v90, v10 :: v_dual_mov_b32 v89, v9
	v_mul_f64 v[9:10], v[65:66], s[0:1]
	v_fma_f64 v[65:66], v[91:92], v[27:28], -v[45:46]
	ds_load_b128 v[25:28], v8 offset:15552
	ds_load_b128 v[37:40], v8 offset:48384
	global_store_b128 v[53:54], v[17:20], off
	global_store_b128 v[47:48], v[33:36], off
	v_mul_f64 v[35:36], v[71:72], s[0:1]
	scratch_load_b128 v[71:74], off, off offset:8 ; 16-byte Folded Reload
	s_waitcnt lgkmcnt(5)
	v_mul_f64 v[55:56], v[11:12], v[2:3]
	v_mul_f64 v[57:58], v[11:12], v[0:1]
	;; [unrolled: 1-line block ×5, first 2 shown]
	v_add_co_u32 v53, vcc_lo, v47, s4
	v_add_co_ci_u32_e32 v54, vcc_lo, s2, v48, vcc_lo
	v_mul_f64 v[47:48], v[79:80], s[0:1]
	scratch_load_b128 v[93:96], off, off offset:136 ; 16-byte Folded Reload
	ds_load_b128 v[17:20], v8 offset:32832
	v_fma_f64 v[55:56], v[89:90], v[0:1], v[55:56]
	v_fma_f64 v[57:58], v[89:90], v[2:3], -v[57:58]
	global_store_b128 v[53:54], v[9:12], off
	v_add_co_u32 v10, vcc_lo, v53, s6
	v_add_co_ci_u32_e32 v11, vcc_lo, s3, v54, vcc_lo
	v_mul_f64 v[12:13], v[13:14], s[0:1]
	s_delay_alu instid0(VALU_DEP_3) | instskip(NEXT) | instid1(VALU_DEP_3)
	v_add_co_u32 v53, vcc_lo, v10, s6
	v_add_co_ci_u32_e32 v54, vcc_lo, s3, v11, vcc_lo
	global_store_b128 v[10:11], v[33:36], off
	v_add_co_u32 v10, vcc_lo, v53, s4
	v_add_co_ci_u32_e32 v11, vcc_lo, s2, v54, vcc_lo
	v_mul_f64 v[14:15], v[15:16], s[0:1]
	s_waitcnt vmcnt(1) lgkmcnt(3)
	v_mul_f64 v[67:68], v[73:74], v[6:7]
	v_mul_f64 v[69:70], v[73:74], v[4:5]
	scratch_load_b128 v[73:76], off, off offset:24 ; 16-byte Folded Reload
	v_dual_mov_b32 v88, v72 :: v_dual_mov_b32 v87, v71
	s_waitcnt vmcnt(1) lgkmcnt(0)
	v_mul_f64 v[2:3], v[95:96], v[19:20]
	s_delay_alu instid0(VALU_DEP_2)
	v_fma_f64 v[33:34], v[87:88], v[4:5], v[67:68]
	v_fma_f64 v[35:36], v[87:88], v[6:7], -v[69:70]
	v_mul_f64 v[4:5], v[59:60], s[0:1]
	v_mul_f64 v[6:7], v[61:62], s[0:1]
	s_waitcnt vmcnt(0)
	v_mul_f64 v[71:72], v[75:76], v[31:32]
	v_mul_f64 v[49:50], v[75:76], v[29:30]
	scratch_load_b128 v[75:78], off, off offset:72 ; 16-byte Folded Reload
	v_dual_mov_b32 v86, v74 :: v_dual_mov_b32 v85, v73
	s_delay_alu instid0(VALU_DEP_1)
	v_fma_f64 v[29:30], v[85:86], v[29:30], v[71:72]
	v_fma_f64 v[31:32], v[85:86], v[31:32], -v[49:50]
	s_waitcnt vmcnt(0)
	v_mul_f64 v[51:52], v[77:78], v[39:40]
	v_mul_f64 v[73:74], v[77:78], v[37:38]
	scratch_load_b128 v[77:80], off, off offset:120 ; 16-byte Folded Reload
	v_dual_mov_b32 v92, v76 :: v_dual_mov_b32 v91, v75
	s_delay_alu instid0(VALU_DEP_1)
	v_fma_f64 v[37:38], v[91:92], v[37:38], v[51:52]
	v_fma_f64 v[39:40], v[91:92], v[39:40], -v[73:74]
	s_waitcnt vmcnt(0)
	v_dual_mov_b32 v90, v78 :: v_dual_mov_b32 v89, v77
	v_mul_f64 v[77:78], v[95:96], v[17:18]
	scratch_load_b128 v[95:98], off, off offset:152 ; 16-byte Folded Reload
	v_mul_f64 v[75:76], v[79:80], v[27:28]
	v_mul_f64 v[0:1], v[79:80], v[25:26]
	global_store_b128 v[53:54], v[41:44], off
	global_store_b128 v[10:11], v[45:48], off
	v_fma_f64 v[45:46], v[93:94], v[17:18], v[2:3]
	v_mul_f64 v[2:3], v[83:84], s[0:1]
	v_add_co_u32 v53, vcc_lo, v10, s6
	v_add_co_ci_u32_e32 v54, vcc_lo, s3, v11, vcc_lo
	v_mul_f64 v[10:11], v[65:66], s[0:1]
	s_delay_alu instid0(VALU_DEP_3) | instskip(NEXT) | instid1(VALU_DEP_3)
	v_add_co_u32 v59, vcc_lo, v53, s6
	v_add_co_ci_u32_e32 v60, vcc_lo, s3, v54, vcc_lo
	v_mul_f64 v[16:17], v[55:56], s[0:1]
	s_delay_alu instid0(VALU_DEP_3) | instskip(NEXT) | instid1(VALU_DEP_3)
	v_add_co_u32 v61, vcc_lo, v59, s4
	v_add_co_ci_u32_e32 v62, vcc_lo, s2, v60, vcc_lo
	s_delay_alu instid0(VALU_DEP_2) | instskip(NEXT) | instid1(VALU_DEP_2)
	v_add_co_u32 v55, vcc_lo, v61, s6
	v_add_co_ci_u32_e32 v56, vcc_lo, s3, v62, vcc_lo
	v_fma_f64 v[47:48], v[93:94], v[19:20], -v[77:78]
	v_mul_f64 v[18:19], v[57:58], s[0:1]
	v_fma_f64 v[41:42], v[89:90], v[25:26], v[75:76]
	v_fma_f64 v[43:44], v[89:90], v[27:28], -v[0:1]
	v_mul_f64 v[0:1], v[81:82], s[0:1]
	v_mul_f64 v[26:27], v[31:32], s[0:1]
	global_store_b128 v[53:54], v[0:3], off
	global_store_b128 v[59:60], v[4:7], off
	s_waitcnt vmcnt(0)
	v_mul_f64 v[79:80], v[97:98], v[23:24]
	v_mul_f64 v[8:9], v[97:98], v[21:22]
	s_delay_alu instid0(VALU_DEP_2) | instskip(NEXT) | instid1(VALU_DEP_2)
	v_fma_f64 v[49:50], v[95:96], v[21:22], v[79:80]
	v_fma_f64 v[51:52], v[95:96], v[23:24], -v[8:9]
	v_mul_f64 v[8:9], v[63:64], s[0:1]
	v_mul_f64 v[20:21], v[33:34], s[0:1]
	;; [unrolled: 1-line block ×10, first 2 shown]
	v_add_co_u32 v44, vcc_lo, v55, s6
	v_add_co_ci_u32_e32 v45, vcc_lo, s3, v56, vcc_lo
	s_delay_alu instid0(VALU_DEP_2) | instskip(NEXT) | instid1(VALU_DEP_2)
	v_add_co_u32 v0, vcc_lo, v44, s4
	v_add_co_ci_u32_e32 v1, vcc_lo, s2, v45, vcc_lo
	s_delay_alu instid0(VALU_DEP_2) | instskip(NEXT) | instid1(VALU_DEP_2)
	;; [unrolled: 3-line block ×4, first 2 shown]
	v_add_co_u32 v6, vcc_lo, v4, s4
	v_add_co_ci_u32_e32 v7, vcc_lo, s2, v5, vcc_lo
	v_mul_f64 v[40:41], v[49:50], s[0:1]
	v_mul_f64 v[42:43], v[51:52], s[0:1]
	global_store_b128 v[61:62], v[8:11], off
	v_add_co_u32 v8, vcc_lo, v6, s6
	v_add_co_ci_u32_e32 v9, vcc_lo, s3, v7, vcc_lo
	global_store_b128 v[55:56], v[12:15], off
	global_store_b128 v[44:45], v[16:19], off
	;; [unrolled: 1-line block ×3, first 2 shown]
	v_add_co_u32 v0, vcc_lo, v8, s6
	v_add_co_ci_u32_e32 v1, vcc_lo, s3, v9, vcc_lo
	global_store_b128 v[2:3], v[24:27], off
	global_store_b128 v[4:5], v[28:31], off
	;; [unrolled: 1-line block ×5, first 2 shown]
.LBB0_2:
	s_nop 0
	s_sendmsg sendmsg(MSG_DEALLOC_VGPRS)
	s_endpgm
	.section	.rodata,"a",@progbits
	.p2align	6, 0x0
	.amdhsa_kernel bluestein_single_fwd_len3240_dim1_dp_op_CI_CI
		.amdhsa_group_segment_fixed_size 51840
		.amdhsa_private_segment_fixed_size 1832
		.amdhsa_kernarg_size 104
		.amdhsa_user_sgpr_count 15
		.amdhsa_user_sgpr_dispatch_ptr 0
		.amdhsa_user_sgpr_queue_ptr 0
		.amdhsa_user_sgpr_kernarg_segment_ptr 1
		.amdhsa_user_sgpr_dispatch_id 0
		.amdhsa_user_sgpr_private_segment_size 0
		.amdhsa_wavefront_size32 1
		.amdhsa_uses_dynamic_stack 0
		.amdhsa_enable_private_segment 1
		.amdhsa_system_sgpr_workgroup_id_x 1
		.amdhsa_system_sgpr_workgroup_id_y 0
		.amdhsa_system_sgpr_workgroup_id_z 0
		.amdhsa_system_sgpr_workgroup_info 0
		.amdhsa_system_vgpr_workitem_id 0
		.amdhsa_next_free_vgpr 256
		.amdhsa_next_free_sgpr 29
		.amdhsa_reserve_vcc 1
		.amdhsa_float_round_mode_32 0
		.amdhsa_float_round_mode_16_64 0
		.amdhsa_float_denorm_mode_32 3
		.amdhsa_float_denorm_mode_16_64 3
		.amdhsa_dx10_clamp 1
		.amdhsa_ieee_mode 1
		.amdhsa_fp16_overflow 0
		.amdhsa_workgroup_processor_mode 1
		.amdhsa_memory_ordered 1
		.amdhsa_forward_progress 0
		.amdhsa_shared_vgpr_count 0
		.amdhsa_exception_fp_ieee_invalid_op 0
		.amdhsa_exception_fp_denorm_src 0
		.amdhsa_exception_fp_ieee_div_zero 0
		.amdhsa_exception_fp_ieee_overflow 0
		.amdhsa_exception_fp_ieee_underflow 0
		.amdhsa_exception_fp_ieee_inexact 0
		.amdhsa_exception_int_div_zero 0
	.end_amdhsa_kernel
	.text
.Lfunc_end0:
	.size	bluestein_single_fwd_len3240_dim1_dp_op_CI_CI, .Lfunc_end0-bluestein_single_fwd_len3240_dim1_dp_op_CI_CI
                                        ; -- End function
	.section	.AMDGPU.csdata,"",@progbits
; Kernel info:
; codeLenInByte = 47020
; NumSgprs: 31
; NumVgprs: 256
; ScratchSize: 1832
; MemoryBound: 0
; FloatMode: 240
; IeeeMode: 1
; LDSByteSize: 51840 bytes/workgroup (compile time only)
; SGPRBlocks: 3
; VGPRBlocks: 31
; NumSGPRsForWavesPerEU: 31
; NumVGPRsForWavesPerEU: 256
; Occupancy: 2
; WaveLimiterHint : 1
; COMPUTE_PGM_RSRC2:SCRATCH_EN: 1
; COMPUTE_PGM_RSRC2:USER_SGPR: 15
; COMPUTE_PGM_RSRC2:TRAP_HANDLER: 0
; COMPUTE_PGM_RSRC2:TGID_X_EN: 1
; COMPUTE_PGM_RSRC2:TGID_Y_EN: 0
; COMPUTE_PGM_RSRC2:TGID_Z_EN: 0
; COMPUTE_PGM_RSRC2:TIDIG_COMP_CNT: 0
	.text
	.p2alignl 7, 3214868480
	.fill 96, 4, 3214868480
	.type	__hip_cuid_7cb8b3fe56940c9a,@object ; @__hip_cuid_7cb8b3fe56940c9a
	.section	.bss,"aw",@nobits
	.globl	__hip_cuid_7cb8b3fe56940c9a
__hip_cuid_7cb8b3fe56940c9a:
	.byte	0                               ; 0x0
	.size	__hip_cuid_7cb8b3fe56940c9a, 1

	.ident	"AMD clang version 19.0.0git (https://github.com/RadeonOpenCompute/llvm-project roc-6.4.0 25133 c7fe45cf4b819c5991fe208aaa96edf142730f1d)"
	.section	".note.GNU-stack","",@progbits
	.addrsig
	.addrsig_sym __hip_cuid_7cb8b3fe56940c9a
	.amdgpu_metadata
---
amdhsa.kernels:
  - .args:
      - .actual_access:  read_only
        .address_space:  global
        .offset:         0
        .size:           8
        .value_kind:     global_buffer
      - .actual_access:  read_only
        .address_space:  global
        .offset:         8
        .size:           8
        .value_kind:     global_buffer
      - .actual_access:  read_only
        .address_space:  global
        .offset:         16
        .size:           8
        .value_kind:     global_buffer
      - .actual_access:  read_only
        .address_space:  global
        .offset:         24
        .size:           8
        .value_kind:     global_buffer
      - .actual_access:  read_only
        .address_space:  global
        .offset:         32
        .size:           8
        .value_kind:     global_buffer
      - .offset:         40
        .size:           8
        .value_kind:     by_value
      - .address_space:  global
        .offset:         48
        .size:           8
        .value_kind:     global_buffer
      - .address_space:  global
        .offset:         56
        .size:           8
        .value_kind:     global_buffer
      - .address_space:  global
        .offset:         64
        .size:           8
        .value_kind:     global_buffer
      - .address_space:  global
        .offset:         72
        .size:           8
        .value_kind:     global_buffer
      - .offset:         80
        .size:           4
        .value_kind:     by_value
      - .address_space:  global
        .offset:         88
        .size:           8
        .value_kind:     global_buffer
      - .address_space:  global
        .offset:         96
        .size:           8
        .value_kind:     global_buffer
    .group_segment_fixed_size: 51840
    .kernarg_segment_align: 8
    .kernarg_segment_size: 104
    .language:       OpenCL C
    .language_version:
      - 2
      - 0
    .max_flat_workgroup_size: 108
    .name:           bluestein_single_fwd_len3240_dim1_dp_op_CI_CI
    .private_segment_fixed_size: 1832
    .sgpr_count:     31
    .sgpr_spill_count: 0
    .symbol:         bluestein_single_fwd_len3240_dim1_dp_op_CI_CI.kd
    .uniform_work_group_size: 1
    .uses_dynamic_stack: false
    .vgpr_count:     256
    .vgpr_spill_count: 457
    .wavefront_size: 32
    .workgroup_processor_mode: 1
amdhsa.target:   amdgcn-amd-amdhsa--gfx1100
amdhsa.version:
  - 1
  - 2
...

	.end_amdgpu_metadata
